;; amdgpu-corpus repo=ROCm/rocFFT kind=compiled arch=gfx906 opt=O3
	.text
	.amdgcn_target "amdgcn-amd-amdhsa--gfx906"
	.amdhsa_code_object_version 6
	.protected	bluestein_single_back_len1750_dim1_half_op_CI_CI ; -- Begin function bluestein_single_back_len1750_dim1_half_op_CI_CI
	.globl	bluestein_single_back_len1750_dim1_half_op_CI_CI
	.p2align	8
	.type	bluestein_single_back_len1750_dim1_half_op_CI_CI,@function
bluestein_single_back_len1750_dim1_half_op_CI_CI: ; @bluestein_single_back_len1750_dim1_half_op_CI_CI
; %bb.0:
	s_load_dwordx4 s[16:19], s[4:5], 0x28
	v_mul_u32_u24_e32 v1, 0x177, v0
	v_add_u32_sdwa v32, s6, v1 dst_sel:DWORD dst_unused:UNUSED_PAD src0_sel:DWORD src1_sel:WORD_1
	v_mov_b32_e32 v33, 0
	s_waitcnt lgkmcnt(0)
	v_cmp_gt_u64_e32 vcc, s[16:17], v[32:33]
	s_and_saveexec_b64 s[0:1], vcc
	s_cbranch_execz .LBB0_10
; %bb.1:
	s_load_dwordx4 s[0:3], s[4:5], 0x18
	s_load_dwordx4 s[12:15], s[4:5], 0x0
                                        ; implicit-def: $vgpr72
                                        ; implicit-def: $vgpr73
                                        ; implicit-def: $vgpr74
	s_waitcnt lgkmcnt(0)
	s_load_dwordx4 s[8:11], s[0:1], 0x0
	s_movk_i32 s0, 0xaf
	v_mul_lo_u16_sdwa v1, v1, s0 dst_sel:DWORD dst_unused:UNUSED_PAD src0_sel:WORD_1 src1_sel:DWORD
	v_sub_u16_e32 v50, v0, v1
	v_lshlrev_b32_e32 v52, 2, v50
	s_waitcnt lgkmcnt(0)
	v_mad_u64_u32 v[0:1], s[6:7], s10, v32, 0
	v_mad_u64_u32 v[2:3], s[6:7], s8, v50, 0
	s_mul_i32 s1, s9, 0xdac
	global_load_dword v51, v52, s[12:13]
	v_mad_u64_u32 v[4:5], s[6:7], s11, v32, v[1:2]
	v_add_u32_e32 v13, 0x500, v52
	v_lshlrev_b32_e32 v62, 3, v50
	v_mad_u64_u32 v[5:6], s[6:7], s9, v50, v[3:4]
	v_mov_b32_e32 v1, v4
	v_lshlrev_b64 v[0:1], 2, v[0:1]
	v_mov_b32_e32 v6, s19
	v_mov_b32_e32 v3, v5
	v_add_co_u32_e32 v4, vcc, s18, v0
	v_addc_co_u32_e32 v5, vcc, v6, v1, vcc
	v_lshlrev_b64 v[0:1], 2, v[2:3]
	v_mov_b32_e32 v2, s13
	v_add_co_u32_e32 v0, vcc, v4, v0
	v_addc_co_u32_e32 v1, vcc, v5, v1, vcc
	v_add_co_u32_e32 v4, vcc, s12, v52
	s_mul_hi_u32 s6, s8, 0xdac
	v_addc_co_u32_e32 v5, vcc, 0, v2, vcc
	s_add_i32 s1, s6, s1
	s_mul_i32 s6, s8, 0xdac
	v_mov_b32_e32 v3, s1
	v_add_co_u32_e32 v2, vcc, s6, v0
	v_addc_co_u32_e32 v3, vcc, v1, v3, vcc
	global_load_dword v6, v[0:1], off
	global_load_dword v7, v[2:3], off
	global_load_dword v49, v52, s[12:13] offset:3500
	s_mul_i32 s7, s9, 0xfffff510
	s_mul_hi_u32 s9, s8, 0xfffff510
	s_sub_i32 s9, s9, s8
	s_add_i32 s7, s9, s7
	s_mulk_i32 s8, 0xf510
	v_mov_b32_e32 v1, s7
	v_add_co_u32_e32 v0, vcc, s8, v2
	v_addc_co_u32_e32 v1, vcc, v3, v1, vcc
	v_mov_b32_e32 v3, s1
	v_add_co_u32_e32 v2, vcc, s6, v0
	global_load_dword v48, v52, s[12:13] offset:700
	v_addc_co_u32_e32 v3, vcc, v1, v3, vcc
	global_load_dword v8, v[0:1], off
	global_load_dword v9, v[2:3], off
	s_movk_i32 s9, 0x1000
	v_add_co_u32_e32 v0, vcc, s9, v4
	v_addc_co_u32_e32 v1, vcc, 0, v5, vcc
	global_load_dword v47, v[0:1], off offset:104
	v_mov_b32_e32 v4, s7
	v_add_co_u32_e32 v2, vcc, s8, v2
	v_addc_co_u32_e32 v3, vcc, v3, v4, vcc
	global_load_dword v4, v[2:3], off
	global_load_dword v46, v52, s[12:13] offset:1400
	v_mov_b32_e32 v5, s1
	v_add_co_u32_e32 v2, vcc, s6, v2
	v_addc_co_u32_e32 v3, vcc, v3, v5, vcc
	global_load_dword v5, v[2:3], off
	global_load_dword v45, v[0:1], off offset:804
	v_mov_b32_e32 v10, s7
	v_add_co_u32_e32 v2, vcc, s8, v2
	v_addc_co_u32_e32 v3, vcc, v3, v10, vcc
	global_load_dword v10, v[2:3], off
	global_load_dword v44, v52, s[12:13] offset:2100
	v_mov_b32_e32 v11, s1
	v_add_co_u32_e32 v2, vcc, s6, v2
	v_addc_co_u32_e32 v3, vcc, v3, v11, vcc
	global_load_dword v11, v[2:3], off
	;; [unrolled: 10-line block ×3, first 2 shown]
	global_load_dword v41, v[0:1], off offset:2204
	v_add_u32_e32 v12, 0x1000, v52
	s_load_dwordx4 s[8:11], s[2:3], 0x0
	v_add_co_u32_e32 v61, vcc, s0, v50
	v_and_b32_e32 v22, 1, v50
	v_lshlrev_b32_e32 v53, 3, v61
	v_and_b32_e32 v23, 1, v61
	s_movk_i32 s0, 0x3b9c
	s_mov_b32 s3, 0xbb9c
	s_movk_i32 s1, 0x38b4
	s_mov_b32 s6, 0xb8b4
	;; [unrolled: 2-line block ×3, first 2 shown]
	s_waitcnt vmcnt(18)
	v_lshrrev_b32_e32 v0, 16, v6
	v_mul_f16_sdwa v1, v51, v0 dst_sel:DWORD dst_unused:UNUSED_PAD src0_sel:WORD_1 src1_sel:DWORD
	v_mul_f16_sdwa v2, v51, v6 dst_sel:DWORD dst_unused:UNUSED_PAD src0_sel:WORD_1 src1_sel:DWORD
	v_fma_f16 v1, v51, v6, v1
	v_fma_f16 v0, v51, v0, -v2
	v_pack_b32_f16 v0, v1, v0
	s_waitcnt vmcnt(17)
	v_lshrrev_b32_e32 v1, 16, v7
	s_waitcnt vmcnt(16)
	v_mul_f16_sdwa v2, v49, v1 dst_sel:DWORD dst_unused:UNUSED_PAD src0_sel:WORD_1 src1_sel:DWORD
	v_mul_f16_sdwa v3, v49, v7 dst_sel:DWORD dst_unused:UNUSED_PAD src0_sel:WORD_1 src1_sel:DWORD
	v_fma_f16 v2, v49, v7, v2
	v_fma_f16 v1, v49, v1, -v3
	v_pack_b32_f16 v1, v2, v1
	ds_write_b32 v52, v1 offset:3500
	s_waitcnt vmcnt(14)
	v_lshrrev_b32_e32 v1, 16, v8
	v_mul_f16_sdwa v2, v48, v1 dst_sel:DWORD dst_unused:UNUSED_PAD src0_sel:WORD_1 src1_sel:DWORD
	v_mul_f16_sdwa v3, v48, v8 dst_sel:DWORD dst_unused:UNUSED_PAD src0_sel:WORD_1 src1_sel:DWORD
	v_fma_f16 v2, v48, v8, v2
	v_fma_f16 v1, v48, v1, -v3
	v_pack_b32_f16 v1, v2, v1
	ds_write2_b32 v52, v0, v1 offset1:175
	s_waitcnt vmcnt(13)
	v_lshrrev_b32_e32 v0, 16, v9
	s_waitcnt vmcnt(12)
	v_mul_f16_sdwa v1, v47, v0 dst_sel:DWORD dst_unused:UNUSED_PAD src0_sel:WORD_1 src1_sel:DWORD
	v_mul_f16_sdwa v2, v47, v9 dst_sel:DWORD dst_unused:UNUSED_PAD src0_sel:WORD_1 src1_sel:DWORD
	v_fma_f16 v1, v47, v9, v1
	v_fma_f16 v0, v47, v0, -v2
	v_pack_b32_f16 v0, v1, v0
	s_waitcnt vmcnt(11)
	v_lshrrev_b32_e32 v1, 16, v4
	s_waitcnt vmcnt(10)
	v_mul_f16_sdwa v2, v46, v1 dst_sel:DWORD dst_unused:UNUSED_PAD src0_sel:WORD_1 src1_sel:DWORD
	v_mul_f16_sdwa v3, v46, v4 dst_sel:DWORD dst_unused:UNUSED_PAD src0_sel:WORD_1 src1_sel:DWORD
	v_fma_f16 v2, v46, v4, v2
	v_fma_f16 v1, v46, v1, -v3
	v_pack_b32_f16 v1, v2, v1
	s_waitcnt vmcnt(9)
	v_lshrrev_b32_e32 v2, 16, v5
	s_waitcnt vmcnt(8)
	v_mul_f16_sdwa v3, v45, v2 dst_sel:DWORD dst_unused:UNUSED_PAD src0_sel:WORD_1 src1_sel:DWORD
	v_mul_f16_sdwa v4, v45, v5 dst_sel:DWORD dst_unused:UNUSED_PAD src0_sel:WORD_1 src1_sel:DWORD
	v_fma_f16 v3, v45, v5, v3
	v_fma_f16 v2, v45, v2, -v4
	v_pack_b32_f16 v2, v3, v2
	ds_write2_b32 v12, v0, v2 offset0:26 offset1:201
	s_waitcnt vmcnt(7)
	v_lshrrev_b32_e32 v0, 16, v10
	s_waitcnt vmcnt(6)
	v_mul_f16_sdwa v2, v44, v0 dst_sel:DWORD dst_unused:UNUSED_PAD src0_sel:WORD_1 src1_sel:DWORD
	v_mul_f16_sdwa v3, v44, v10 dst_sel:DWORD dst_unused:UNUSED_PAD src0_sel:WORD_1 src1_sel:DWORD
	v_fma_f16 v2, v44, v10, v2
	v_fma_f16 v0, v44, v0, -v3
	v_pack_b32_f16 v0, v2, v0
	ds_write2_b32 v13, v1, v0 offset0:30 offset1:205
	s_waitcnt vmcnt(5)
	v_lshrrev_b32_e32 v0, 16, v11
	s_waitcnt vmcnt(4)
	v_mul_f16_sdwa v1, v43, v0 dst_sel:DWORD dst_unused:UNUSED_PAD src0_sel:WORD_1 src1_sel:DWORD
	v_mul_f16_sdwa v2, v43, v11 dst_sel:DWORD dst_unused:UNUSED_PAD src0_sel:WORD_1 src1_sel:DWORD
	v_fma_f16 v1, v43, v11, v1
	v_fma_f16 v0, v43, v0, -v2
	v_pack_b32_f16 v0, v1, v0
	s_waitcnt vmcnt(3)
	v_lshrrev_b32_e32 v1, 16, v14
	s_waitcnt vmcnt(2)
	v_mul_f16_sdwa v2, v42, v1 dst_sel:DWORD dst_unused:UNUSED_PAD src0_sel:WORD_1 src1_sel:DWORD
	v_mul_f16_sdwa v3, v42, v14 dst_sel:DWORD dst_unused:UNUSED_PAD src0_sel:WORD_1 src1_sel:DWORD
	v_fma_f16 v2, v42, v14, v2
	v_fma_f16 v1, v42, v1, -v3
	v_pack_b32_f16 v1, v2, v1
	ds_write_b32 v52, v1 offset:2800
	s_waitcnt vmcnt(1)
	v_lshrrev_b32_e32 v1, 16, v15
	s_waitcnt vmcnt(0)
	v_mul_f16_sdwa v2, v41, v1 dst_sel:DWORD dst_unused:UNUSED_PAD src0_sel:WORD_1 src1_sel:DWORD
	v_mul_f16_sdwa v3, v41, v15 dst_sel:DWORD dst_unused:UNUSED_PAD src0_sel:WORD_1 src1_sel:DWORD
	v_fma_f16 v2, v41, v15, v2
	v_fma_f16 v1, v41, v1, -v3
	v_pack_b32_f16 v1, v2, v1
	v_add_u32_e32 v14, 0x1500, v52
	ds_write2_b32 v14, v0, v1 offset0:56 offset1:231
	s_waitcnt lgkmcnt(0)
	s_barrier
	ds_read2_b32 v[0:1], v12 offset0:26 offset1:201
	ds_read2_b32 v[2:3], v13 offset0:30 offset1:205
	;; [unrolled: 1-line block ×3, first 2 shown]
	ds_read2_b32 v[6:7], v52 offset1:175
	v_add_u32_e32 v15, 0xa00, v52
	s_waitcnt lgkmcnt(2)
	v_pk_add_f16 v9, v2, v1 neg_lo:[0,1] neg_hi:[0,1]
	v_pk_fma_f16 v8, v2, 2.0, v9 op_sel_hi:[1,0,1] neg_lo:[0,0,1] neg_hi:[0,0,1]
	s_waitcnt lgkmcnt(1)
	v_pk_add_f16 v2, v3, v4 neg_lo:[0,1] neg_hi:[0,1]
	v_pk_fma_f16 v1, v3, 2.0, v2 op_sel_hi:[1,0,1] neg_lo:[0,0,1] neg_hi:[0,0,1]
	ds_read2_b32 v[3:4], v15 offset0:60 offset1:235
	s_waitcnt lgkmcnt(1)
	v_pk_add_f16 v11, v7, v0 neg_lo:[0,1] neg_hi:[0,1]
	v_lshlrev_b16_e32 v0, 1, v50
	v_lshlrev_b32_e32 v54, 2, v0
	v_add_u32_e32 v0, 0xa00, v62
	s_waitcnt lgkmcnt(0)
	v_pk_add_f16 v17, v3, v5 neg_lo:[0,1] neg_hi:[0,1]
	v_pk_add_f16 v4, v6, v4 neg_lo:[0,1] neg_hi:[0,1]
	v_pk_fma_f16 v16, v3, 2.0, v17 op_sel_hi:[1,0,1] neg_lo:[0,0,1] neg_hi:[0,0,1]
	v_pk_fma_f16 v3, v6, 2.0, v4 op_sel_hi:[1,0,1] neg_lo:[0,0,1] neg_hi:[0,0,1]
	;; [unrolled: 1-line block ×3, first 2 shown]
	s_barrier
	ds_write_b64 v54, v[3:4]
	ds_write_b64 v53, v[10:11]
	ds_write2_b64 v0, v[8:9], v[1:2] offset0:30 offset1:205
	ds_write_b64 v62, v[16:17] offset:5600
	v_lshlrev_b32_e32 v0, 4, v22
	s_waitcnt lgkmcnt(0)
	s_barrier
	global_load_dwordx4 v[0:3], v0, s[14:15]
	v_lshlrev_b32_e32 v4, 4, v23
	global_load_dwordx4 v[4:7], v4, s[14:15]
	ds_read2_b32 v[8:9], v13 offset0:30 offset1:205
	ds_read2_b32 v[10:11], v15 offset0:60 offset1:235
	s_waitcnt lgkmcnt(1)
	v_lshrrev_b32_e32 v16, 16, v8
	s_waitcnt lgkmcnt(0)
	v_lshrrev_b32_e32 v18, 16, v10
	s_waitcnt vmcnt(1)
	v_mul_f16_sdwa v17, v8, v0 dst_sel:DWORD dst_unused:UNUSED_PAD src0_sel:DWORD src1_sel:WORD_1
	v_fma_f16 v24, v16, v0, v17
	v_mul_f16_sdwa v16, v16, v0 dst_sel:DWORD dst_unused:UNUSED_PAD src0_sel:DWORD src1_sel:WORD_1
	v_fma_f16 v8, v8, v0, -v16
	ds_read2_b32 v[16:17], v12 offset0:26 offset1:201
	v_mul_f16_sdwa v19, v10, v1 dst_sel:DWORD dst_unused:UNUSED_PAD src0_sel:DWORD src1_sel:WORD_1
	v_fma_f16 v25, v18, v1, v19
	v_mul_f16_sdwa v18, v18, v1 dst_sel:DWORD dst_unused:UNUSED_PAD src0_sel:DWORD src1_sel:WORD_1
	v_fma_f16 v10, v10, v1, -v18
	ds_read2_b32 v[18:19], v14 offset0:56 offset1:231
	s_waitcnt lgkmcnt(1)
	v_lshrrev_b32_e32 v20, 16, v16
	v_mul_f16_sdwa v21, v16, v2 dst_sel:DWORD dst_unused:UNUSED_PAD src0_sel:DWORD src1_sel:WORD_1
	v_fma_f16 v26, v20, v2, v21
	v_mul_f16_sdwa v20, v20, v2 dst_sel:DWORD dst_unused:UNUSED_PAD src0_sel:DWORD src1_sel:WORD_1
	v_fma_f16 v16, v16, v2, -v20
	s_waitcnt lgkmcnt(0)
	v_lshrrev_b32_e32 v20, 16, v18
	v_mul_f16_sdwa v21, v18, v3 dst_sel:DWORD dst_unused:UNUSED_PAD src0_sel:DWORD src1_sel:WORD_1
	v_fma_f16 v27, v20, v3, v21
	v_mul_f16_sdwa v20, v20, v3 dst_sel:DWORD dst_unused:UNUSED_PAD src0_sel:DWORD src1_sel:WORD_1
	v_fma_f16 v18, v18, v3, -v20
	v_sub_f16_e32 v20, v8, v10
	v_sub_f16_e32 v21, v18, v16
	v_add_f16_e32 v28, v20, v21
	ds_read2_b32 v[20:21], v52 offset1:175
	v_sub_f16_e32 v29, v24, v25
	v_sub_f16_e32 v30, v27, v26
	v_add_f16_e32 v29, v29, v30
	v_lshrrev_b32_e32 v30, 1, v50
	v_mul_u32_u24_e32 v30, 10, v30
	s_waitcnt lgkmcnt(0)
	v_lshrrev_b32_e32 v31, 16, v20
	v_or_b32_e32 v22, v30, v22
	v_add_f16_e32 v30, v20, v8
	v_add_f16_e32 v33, v31, v24
	;; [unrolled: 1-line block ×8, first 2 shown]
	v_pack_b32_f16 v30, v30, v33
	v_add_f16_e32 v33, v10, v16
	v_sub_f16_e32 v38, v8, v18
	v_sub_f16_e32 v40, v10, v16
	v_sub_f16_e32 v10, v10, v8
	v_add_f16_e32 v8, v8, v18
	v_sub_f16_e32 v36, v25, v26
	v_sub_f16_e32 v16, v16, v18
	v_fma_f16 v8, v8, -0.5, v20
	v_sub_f16_e32 v34, v24, v27
	v_add_f16_e32 v10, v10, v16
	v_fma_f16 v16, v36, s3, v8
	v_fma_f16 v8, v36, s0, v8
	;; [unrolled: 1-line block ×6, first 2 shown]
	v_add_f16_e32 v10, v24, v27
	v_fma_f16 v33, v33, -0.5, v20
	v_fma_f16 v10, v10, -0.5, v31
	v_sub_f16_e32 v18, v25, v24
	v_sub_f16_e32 v20, v26, v27
	v_add_f16_e32 v18, v18, v20
	v_fma_f16 v20, v40, s0, v10
	v_fma_f16 v10, v40, s3, v10
	;; [unrolled: 1-line block ×6, first 2 shown]
	v_lshlrev_b32_e32 v55, 2, v22
	v_pack_b32_f16 v16, v16, v20
	v_pack_b32_f16 v8, v8, v10
	s_waitcnt vmcnt(0)
	s_barrier
	ds_write2_b32 v55, v16, v8 offset0:4 offset1:6
	v_lshrrev_b32_e32 v8, 16, v9
	v_mul_f16_sdwa v10, v8, v4 dst_sel:DWORD dst_unused:UNUSED_PAD src0_sel:DWORD src1_sel:WORD_1
	v_fma_f16 v10, v9, v4, -v10
	v_mul_f16_sdwa v9, v9, v4 dst_sel:DWORD dst_unused:UNUSED_PAD src0_sel:DWORD src1_sel:WORD_1
	v_fma_f16 v8, v8, v4, v9
	v_lshrrev_b32_e32 v9, 16, v11
	v_mul_f16_sdwa v16, v9, v5 dst_sel:DWORD dst_unused:UNUSED_PAD src0_sel:DWORD src1_sel:WORD_1
	v_fma_f16 v16, v11, v5, -v16
	v_mul_f16_sdwa v11, v11, v5 dst_sel:DWORD dst_unused:UNUSED_PAD src0_sel:DWORD src1_sel:WORD_1
	v_fma_f16 v9, v9, v5, v11
	;; [unrolled: 5-line block ×3, first 2 shown]
	v_lshrrev_b32_e32 v17, 16, v19
	v_add_f16_e32 v37, v25, v26
	v_mul_f16_sdwa v20, v17, v7 dst_sel:DWORD dst_unused:UNUSED_PAD src0_sel:DWORD src1_sel:WORD_1
	v_fma_f16 v37, v37, -0.5, v31
	v_fma_f16 v20, v19, v7, -v20
	v_mul_f16_sdwa v19, v19, v7 dst_sel:DWORD dst_unused:UNUSED_PAD src0_sel:DWORD src1_sel:WORD_1
	v_fma_f16 v17, v17, v7, v19
	v_fma_f16 v19, v34, s3, v33
	;; [unrolled: 1-line block ×8, first 2 shown]
	v_add_f16_e32 v24, v16, v18
	v_add_f16_e32 v25, v10, v20
	v_lshrrev_b32_e32 v26, 16, v21
	v_fma_f16 v35, v36, s1, v35
	v_fma_f16 v39, v38, s3, v37
	v_fma_f16 v24, v24, -0.5, v21
	v_fma_f16 v25, v25, -0.5, v21
	v_add_f16_e32 v21, v21, v10
	v_pack_b32_f16 v19, v19, v22
	v_add_f16_e32 v22, v26, v8
	v_fma_f16 v35, v28, s2, v35
	v_fma_f16 v39, v40, s6, v39
	v_sub_f16_e32 v27, v10, v16
	v_sub_f16_e32 v28, v20, v18
	v_add_f16_e32 v21, v21, v16
	v_add_f16_e32 v22, v22, v9
	v_fma_f16 v39, v29, s2, v39
	v_add_f16_e32 v27, v27, v28
	v_sub_f16_e32 v28, v8, v9
	v_sub_f16_e32 v29, v17, v11
	v_add_f16_e32 v21, v21, v18
	v_add_f16_e32 v22, v22, v11
	;; [unrolled: 1-line block ×5, first 2 shown]
	v_sub_f16_e32 v29, v9, v11
	v_sub_f16_e32 v31, v10, v20
	;; [unrolled: 1-line block ×5, first 2 shown]
	v_pack_b32_f16 v21, v21, v22
	v_sub_f16_e32 v22, v8, v17
	v_add_f16_e32 v10, v10, v16
	v_fma_f16 v16, v29, s3, v25
	v_fma_f16 v18, v29, s0, v25
	;; [unrolled: 1-line block ×4, first 2 shown]
	v_pack_b32_f16 v35, v35, v39
	v_fma_f16 v16, v10, s2, v16
	v_fma_f16 v10, v10, s2, v18
	v_add_f16_e32 v18, v8, v17
	ds_write2_b32 v55, v30, v35 offset1:2
	v_add_f16_e32 v30, v9, v11
	v_fma_f16 v18, v18, -0.5, v26
	v_sub_f16_e32 v8, v9, v8
	v_sub_f16_e32 v9, v11, v17
	ds_write_b32 v55, v19 offset:32
	v_lshrrev_b32_e32 v19, 1, v61
	v_add_f16_e32 v8, v8, v9
	v_fma_f16 v9, v34, s0, v18
	v_fma_f16 v11, v34, s3, v18
	v_mul_u32_u24_e32 v19, 10, v19
	v_fma_f16 v9, v31, s6, v9
	v_fma_f16 v11, v31, s1, v11
	v_or_b32_e32 v19, v19, v23
	v_fma_f16 v9, v8, s2, v9
	v_fma_f16 v8, v8, s2, v11
	v_fma_f16 v30, v30, -0.5, v26
	v_lshlrev_b32_e32 v56, 2, v19
	v_pack_b32_f16 v9, v16, v9
	v_pack_b32_f16 v8, v10, v8
	ds_write2_b32 v56, v9, v8 offset0:4 offset1:6
	v_fma_f16 v8, v22, s3, v24
	v_fma_f16 v9, v31, s0, v30
	;; [unrolled: 1-line block ×7, first 2 shown]
	v_pack_b32_f16 v8, v8, v9
	v_fma_f16 v33, v34, s6, v33
	ds_write_b32 v56, v8 offset:32
	v_mul_u32_u24_sdwa v8, v61, s7 dst_sel:DWORD dst_unused:UNUSED_PAD src0_sel:WORD_0 src1_sel:DWORD
	v_fma_f16 v33, v28, s2, v33
	v_lshrrev_b32_e32 v28, 19, v8
	v_fma_f16 v23, v22, s0, v24
	v_mul_lo_u16_e32 v8, 10, v28
	v_fma_f16 v23, v29, s1, v23
	v_sub_u16_e32 v29, v61, v8
	v_lshlrev_b16_e32 v8, 4, v29
	v_fma_f16 v23, v27, s2, v23
	v_mov_b32_e32 v9, s15
	v_add_co_u32_e32 v8, vcc, s14, v8
	v_pack_b32_f16 v23, v23, v33
	v_addc_co_u32_e32 v9, vcc, 0, v9, vcc
	ds_write2_b32 v56, v21, v23 offset1:2
	s_waitcnt lgkmcnt(0)
	s_barrier
	global_load_dwordx4 v[8:11], v[8:9], off offset:32
	s_movk_i32 s7, 0xcd
	v_mul_lo_u16_sdwa v16, v50, s7 dst_sel:DWORD dst_unused:UNUSED_PAD src0_sel:BYTE_0 src1_sel:DWORD
	v_lshrrev_b16_e32 v30, 11, v16
	v_mul_lo_u16_e32 v16, 10, v30
	v_sub_u16_e32 v16, v50, v16
	v_and_b32_e32 v31, 0xff, v16
	v_lshlrev_b32_e32 v16, 4, v31
	global_load_dwordx4 v[16:19], v16, s[14:15] offset:32
	ds_read2_b32 v[20:21], v13 offset0:30 offset1:205
	ds_read2_b32 v[22:23], v15 offset0:60 offset1:235
	ds_read2_b32 v[26:27], v52 offset1:175
	v_mul_u32_u24_e32 v30, 50, v30
	s_waitcnt lgkmcnt(2)
	v_lshrrev_b32_e32 v13, 16, v21
	s_waitcnt vmcnt(1)
	v_mul_f16_sdwa v15, v21, v8 dst_sel:DWORD dst_unused:UNUSED_PAD src0_sel:DWORD src1_sel:WORD_1
	v_fma_f16 v33, v13, v8, v15
	v_mul_f16_sdwa v13, v13, v8 dst_sel:DWORD dst_unused:UNUSED_PAD src0_sel:DWORD src1_sel:WORD_1
	v_fma_f16 v21, v21, v8, -v13
	s_waitcnt lgkmcnt(1)
	v_lshrrev_b32_e32 v15, 16, v23
	ds_read2_b32 v[12:13], v12 offset0:26 offset1:201
	v_mul_f16_sdwa v24, v23, v9 dst_sel:DWORD dst_unused:UNUSED_PAD src0_sel:DWORD src1_sel:WORD_1
	v_fma_f16 v34, v15, v9, v24
	v_mul_f16_sdwa v15, v15, v9 dst_sel:DWORD dst_unused:UNUSED_PAD src0_sel:DWORD src1_sel:WORD_1
	v_fma_f16 v23, v23, v9, -v15
	ds_read2_b32 v[14:15], v14 offset0:56 offset1:231
	s_waitcnt lgkmcnt(1)
	v_lshrrev_b32_e32 v24, 16, v13
	v_mul_f16_sdwa v25, v13, v10 dst_sel:DWORD dst_unused:UNUSED_PAD src0_sel:DWORD src1_sel:WORD_1
	v_fma_f16 v35, v24, v10, v25
	v_mul_f16_sdwa v24, v24, v10 dst_sel:DWORD dst_unused:UNUSED_PAD src0_sel:DWORD src1_sel:WORD_1
	v_fma_f16 v13, v13, v10, -v24
	s_waitcnt lgkmcnt(0)
	v_lshrrev_b32_e32 v24, 16, v15
	v_mul_f16_sdwa v25, v15, v11 dst_sel:DWORD dst_unused:UNUSED_PAD src0_sel:DWORD src1_sel:WORD_1
	v_fma_f16 v36, v24, v11, v25
	v_mul_f16_sdwa v24, v24, v11 dst_sel:DWORD dst_unused:UNUSED_PAD src0_sel:DWORD src1_sel:WORD_1
	v_fma_f16 v15, v15, v11, -v24
	v_sub_f16_e32 v24, v23, v21
	v_sub_f16_e32 v25, v13, v15
	v_add_f16_e32 v25, v24, v25
	v_add_f16_e32 v24, v21, v15
	v_fma_f16 v24, v24, -0.5, v27
	v_sub_f16_e32 v38, v34, v35
	v_sub_f16_e32 v37, v33, v36
	v_fma_f16 v39, v38, s3, v24
	v_fma_f16 v39, v37, s1, v39
	;; [unrolled: 1-line block ×5, first 2 shown]
	v_lshrrev_b32_e32 v39, 16, v20
	v_fma_f16 v25, v25, s2, v40
	s_waitcnt vmcnt(0)
	v_mul_f16_sdwa v40, v39, v16 dst_sel:DWORD dst_unused:UNUSED_PAD src0_sel:DWORD src1_sel:WORD_1
	v_fma_f16 v40, v20, v16, -v40
	v_mul_f16_sdwa v20, v20, v16 dst_sel:DWORD dst_unused:UNUSED_PAD src0_sel:DWORD src1_sel:WORD_1
	v_fma_f16 v20, v39, v16, v20
	v_lshrrev_b32_e32 v39, 16, v22
	v_mul_f16_sdwa v57, v39, v17 dst_sel:DWORD dst_unused:UNUSED_PAD src0_sel:DWORD src1_sel:WORD_1
	v_fma_f16 v57, v22, v17, -v57
	v_mul_f16_sdwa v22, v22, v17 dst_sel:DWORD dst_unused:UNUSED_PAD src0_sel:DWORD src1_sel:WORD_1
	v_fma_f16 v22, v39, v17, v22
	v_lshrrev_b32_e32 v39, 16, v12
	;; [unrolled: 5-line block ×3, first 2 shown]
	v_mul_f16_sdwa v59, v39, v19 dst_sel:DWORD dst_unused:UNUSED_PAD src0_sel:DWORD src1_sel:WORD_1
	v_fma_f16 v60, v14, v19, -v59
	v_mul_f16_sdwa v14, v14, v19 dst_sel:DWORD dst_unused:UNUSED_PAD src0_sel:DWORD src1_sel:WORD_1
	v_fma_f16 v14, v39, v19, v14
	v_sub_f16_e32 v39, v40, v57
	v_sub_f16_e32 v59, v60, v58
	v_add_f16_e32 v39, v39, v59
	v_sub_f16_e32 v59, v20, v22
	v_sub_f16_e32 v63, v14, v12
	v_add_f16_e32 v63, v59, v63
	v_add_lshl_u32 v59, v30, v31, 2
	v_lshrrev_b32_e32 v31, 16, v26
	v_add_f16_e32 v30, v26, v40
	v_add_f16_e32 v64, v31, v20
	;; [unrolled: 1-line block ×8, first 2 shown]
	v_pack_b32_f16 v30, v30, v64
	v_add_f16_e32 v64, v57, v58
	v_add_f16_e32 v68, v22, v12
	v_fma_f16 v64, v64, -0.5, v26
	v_sub_f16_e32 v65, v20, v14
	v_fma_f16 v68, v68, -0.5, v31
	v_sub_f16_e32 v69, v40, v60
	v_fma_f16 v66, v65, s0, v64
	v_sub_f16_e32 v67, v22, v12
	v_fma_f16 v70, v69, s3, v68
	;; [unrolled: 2-line block ×3, first 2 shown]
	v_fma_f16 v70, v71, s6, v70
	v_fma_f16 v66, v39, s2, v66
	;; [unrolled: 1-line block ×3, first 2 shown]
	v_pack_b32_f16 v66, v66, v70
	s_barrier
	ds_write2_b32 v59, v30, v66 offset1:10
	v_sub_f16_e32 v30, v57, v40
	v_add_f16_e32 v40, v40, v60
	v_fma_f16 v26, v40, -0.5, v26
	v_sub_f16_e32 v57, v58, v60
	v_fma_f16 v40, v67, s3, v26
	v_fma_f16 v26, v67, s0, v26
	v_add_f16_e32 v30, v30, v57
	v_fma_f16 v40, v65, s1, v40
	v_fma_f16 v26, v65, s6, v26
	;; [unrolled: 1-line block ×4, first 2 shown]
	v_add_f16_e32 v30, v20, v14
	v_fma_f16 v30, v30, -0.5, v31
	v_sub_f16_e32 v20, v22, v20
	v_sub_f16_e32 v12, v12, v14
	v_add_f16_e32 v12, v20, v12
	v_fma_f16 v14, v71, s0, v30
	v_fma_f16 v20, v71, s3, v30
	;; [unrolled: 1-line block ×6, first 2 shown]
	v_pack_b32_f16 v14, v40, v14
	v_pack_b32_f16 v12, v26, v12
	ds_write2_b32 v59, v14, v12 offset0:20 offset1:30
	v_fma_f16 v12, v65, s3, v64
	v_fma_f16 v14, v69, s0, v68
	;; [unrolled: 1-line block ×6, first 2 shown]
	v_lshrrev_b32_e32 v22, 16, v27
	v_add_f16_e32 v26, v27, v21
	v_pack_b32_f16 v12, v12, v14
	v_add_f16_e32 v14, v22, v33
	v_add_f16_e32 v26, v26, v23
	;; [unrolled: 1-line block ×8, first 2 shown]
	v_pack_b32_f16 v14, v26, v14
	v_add_f16_e32 v26, v34, v35
	v_fma_f16 v20, v20, -0.5, v27
	v_sub_f16_e32 v27, v21, v23
	v_sub_f16_e32 v30, v15, v13
	;; [unrolled: 1-line block ×6, first 2 shown]
	v_fma_f16 v26, v26, -0.5, v22
	v_add_f16_e32 v21, v21, v23
	ds_write_b32 v59, v12 offset:160
	v_mad_legacy_u16 v12, v28, 50, v29
	v_fma_f16 v23, v37, s0, v20
	v_fma_f16 v28, v15, s3, v26
	v_add_f16_e32 v27, v27, v30
	v_fma_f16 v23, v38, s1, v23
	v_fma_f16 v28, v13, s6, v28
	;; [unrolled: 1-line block ×4, first 2 shown]
	v_pack_b32_f16 v23, v23, v28
	v_lshlrev_b32_e32 v60, 2, v12
	v_add_f16_e32 v12, v33, v36
	ds_write2_b32 v60, v14, v23 offset1:10
	v_fma_f16 v12, v12, -0.5, v22
	v_sub_f16_e32 v14, v34, v33
	v_sub_f16_e32 v22, v35, v36
	v_add_f16_e32 v14, v14, v22
	v_fma_f16 v22, v13, s0, v12
	v_fma_f16 v12, v13, s3, v12
	;; [unrolled: 1-line block ×6, first 2 shown]
	v_pack_b32_f16 v12, v24, v63
	v_pack_b32_f16 v14, v25, v65
	ds_write2_b32 v60, v12, v14 offset0:20 offset1:30
	v_fma_f16 v12, v37, s3, v20
	v_fma_f16 v14, v15, s0, v26
	;; [unrolled: 1-line block ×6, first 2 shown]
	v_pack_b32_f16 v12, v37, v66
	ds_write_b32 v60, v12 offset:160
	v_add_u32_e32 v12, 0x7c0, v52
	s_waitcnt lgkmcnt(0)
	s_barrier
	ds_read2_b32 v[30:31], v12 offset0:4 offset1:254
	v_add_u32_e32 v12, 0xfa0, v52
	ds_read2_b32 v[28:29], v12 offset1:250
	ds_read_b32 v64, v52 offset:6000
	ds_read2_b32 v[26:27], v52 offset1:250
	s_load_dwordx2 s[2:3], s[4:5], 0x38
	s_movk_i32 s0, 0x4b
	v_cmp_gt_u16_e32 vcc, s0, v50
                                        ; implicit-def: $vgpr71
                                        ; implicit-def: $vgpr67
                                        ; implicit-def: $vgpr40
	s_and_saveexec_b64 s[0:1], vcc
	s_cbranch_execz .LBB0_3
; %bb.2:
	v_add_u32_e32 v12, 0x2b0, v52
	ds_read2_b32 v[24:25], v12 offset0:3 offset1:253
	v_add_u32_e32 v12, 0xa80, v52
	v_add_u32_e32 v13, 0x1250, v52
	ds_read2_b32 v[37:38], v12 offset0:3 offset1:253
	ds_read2_b32 v[39:40], v13 offset0:3 offset1:253
	ds_read_b32 v67, v52 offset:6700
	s_waitcnt lgkmcnt(0)
	v_lshrrev_b32_e32 v63, 16, v24
	v_lshrrev_b32_e32 v65, 16, v25
	v_lshrrev_b32_e32 v66, 16, v37
	v_lshrrev_b32_e32 v72, 16, v38
	v_lshrrev_b32_e32 v74, 16, v39
	v_lshrrev_b32_e32 v71, 16, v40
	v_lshrrev_b32_e32 v73, 16, v67
.LBB0_3:
	s_or_b64 exec, exec, s[0:1]
	v_lshrrev_b16_e32 v12, 1, v61
	v_mul_u32_u24_e32 v12, 0x147b, v12
	v_lshrrev_b32_e32 v57, 17, v12
	v_mul_lo_u16_e32 v12, 50, v57
	v_sub_u16_e32 v58, v61, v12
	v_mul_lo_u16_e32 v12, 24, v58
	v_mov_b32_e32 v13, s15
	v_add_co_u32_e64 v20, s[0:1], s14, v12
	v_addc_co_u32_e64 v21, s[0:1], 0, v13, s[0:1]
	global_load_dwordx4 v[12:15], v[20:21], off offset:192
	global_load_dwordx2 v[33:34], v[20:21], off offset:208
	v_mov_b32_e32 v20, 41
	v_mul_lo_u16_sdwa v20, v50, v20 dst_sel:DWORD dst_unused:UNUSED_PAD src0_sel:BYTE_0 src1_sel:DWORD
	v_lshrrev_b16_e32 v75, 11, v20
	v_mul_lo_u16_e32 v20, 50, v75
	v_sub_u16_e32 v20, v50, v20
	v_and_b32_e32 v76, 0xff, v20
	v_mad_u64_u32 v[68:69], s[0:1], v76, 24, s[14:15]
	global_load_dwordx4 v[20:23], v[68:69], off offset:192
	global_load_dwordx2 v[35:36], v[68:69], off offset:208
	v_add_u32_e32 v70, 0xaf0, v62
	v_add_u32_e32 v69, 0x1068, v62
	;; [unrolled: 1-line block ×3, first 2 shown]
	s_waitcnt lgkmcnt(0)
	v_lshrrev_b32_e32 v62, 16, v27
	v_lshrrev_b32_e32 v77, 16, v30
	v_lshrrev_b32_e32 v80, 16, v29
	v_lshrrev_b32_e32 v81, 16, v64
	v_lshrrev_b32_e32 v78, 16, v31
	v_lshrrev_b32_e32 v79, 16, v28
	s_movk_i32 s0, 0x2b26
	s_movk_i32 s1, 0x3b00
	s_mov_b32 s4, 0xbcab
	s_movk_i32 s5, 0x39e0
	s_mov_b32 s6, 0xb9e0
	;; [unrolled: 2-line block ×3, first 2 shown]
	s_movk_i32 s17, 0x370e
	s_waitcnt vmcnt(0)
	s_barrier
	v_mul_f16_sdwa v82, v65, v12 dst_sel:DWORD dst_unused:UNUSED_PAD src0_sel:DWORD src1_sel:WORD_1
	v_mul_f16_sdwa v83, v25, v12 dst_sel:DWORD dst_unused:UNUSED_PAD src0_sel:DWORD src1_sel:WORD_1
	;; [unrolled: 1-line block ×12, first 2 shown]
	v_fma_f16 v25, v25, v12, -v82
	v_fma_f16 v65, v65, v12, v83
	v_fma_f16 v37, v37, v13, -v84
	v_fma_f16 v66, v66, v13, v85
	;; [unrolled: 2-line block ×4, first 2 shown]
	v_mul_f16_sdwa v82, v62, v20 dst_sel:DWORD dst_unused:UNUSED_PAD src0_sel:DWORD src1_sel:WORD_1
	v_mul_f16_sdwa v83, v27, v20 dst_sel:DWORD dst_unused:UNUSED_PAD src0_sel:DWORD src1_sel:WORD_1
	;; [unrolled: 1-line block ×8, first 2 shown]
	v_fma_f16 v38, v38, v14, -v86
	v_fma_f16 v72, v72, v14, v87
	v_fma_f16 v39, v39, v15, -v88
	v_fma_f16 v74, v74, v15, v89
	v_mul_f16_sdwa v86, v78, v22 dst_sel:DWORD dst_unused:UNUSED_PAD src0_sel:DWORD src1_sel:WORD_1
	v_mul_f16_sdwa v87, v31, v22 dst_sel:DWORD dst_unused:UNUSED_PAD src0_sel:DWORD src1_sel:WORD_1
	;; [unrolled: 1-line block ×4, first 2 shown]
	v_fma_f16 v27, v27, v20, -v82
	v_fma_f16 v62, v62, v20, v83
	v_fma_f16 v30, v30, v21, -v84
	v_fma_f16 v77, v77, v21, v85
	;; [unrolled: 2-line block ×6, first 2 shown]
	v_add_f16_e32 v82, v27, v64
	v_add_f16_e32 v83, v62, v81
	v_sub_f16_e32 v27, v27, v64
	v_sub_f16_e32 v62, v62, v81
	v_add_f16_e32 v64, v30, v29
	v_add_f16_e32 v81, v77, v80
	v_sub_f16_e32 v29, v30, v29
	v_sub_f16_e32 v30, v77, v80
	;; [unrolled: 4-line block ×4, first 2 shown]
	v_sub_f16_e32 v82, v82, v77
	v_sub_f16_e32 v83, v83, v80
	;; [unrolled: 1-line block ×4, first 2 shown]
	v_add_f16_e32 v86, v28, v29
	v_add_f16_e32 v87, v31, v30
	v_sub_f16_e32 v88, v28, v29
	v_sub_f16_e32 v89, v31, v30
	;; [unrolled: 1-line block ×4, first 2 shown]
	v_add_f16_e32 v77, v77, v78
	v_add_f16_e32 v78, v80, v79
	v_sub_f16_e32 v28, v27, v28
	v_sub_f16_e32 v31, v62, v31
	v_add_f16_e32 v27, v86, v27
	v_add_f16_e32 v62, v87, v62
	;; [unrolled: 1-line block ×3, first 2 shown]
	v_add_f16_sdwa v80, v26, v78 dst_sel:DWORD dst_unused:UNUSED_PAD src0_sel:WORD_1 src1_sel:DWORD
	v_mul_f16_e32 v26, 0x3a52, v82
	v_mul_f16_e32 v82, 0x3a52, v83
	;; [unrolled: 1-line block ×8, first 2 shown]
	v_fma_f16 v77, v77, s4, v79
	v_fma_f16 v78, v78, s4, v80
	;; [unrolled: 1-line block ×4, first 2 shown]
	v_fma_f16 v83, v84, s5, -v83
	v_fma_f16 v86, v85, s5, -v86
	v_fma_f16 v26, v84, s6, -v26
	v_fma_f16 v82, v85, s6, -v82
	v_fma_f16 v84, v28, s7, v87
	v_fma_f16 v85, v31, s7, v88
	v_fma_f16 v29, v29, s1, -v87
	v_fma_f16 v30, v30, s1, -v88
	;; [unrolled: 1-line block ×4, first 2 shown]
	v_add_f16_e32 v64, v64, v77
	v_add_f16_e32 v81, v81, v78
	;; [unrolled: 1-line block ×6, first 2 shown]
	v_fma_f16 v78, v27, s17, v84
	v_fma_f16 v29, v27, s17, v29
	;; [unrolled: 1-line block ×6, first 2 shown]
	v_add_f16_e32 v87, v28, v26
	v_sub_f16_e32 v88, v77, v27
	v_sub_f16_e32 v89, v83, v30
	v_add_f16_e32 v90, v29, v86
	v_add_f16_e32 v83, v30, v83
	v_sub_f16_e32 v86, v86, v29
	v_sub_f16_e32 v91, v26, v28
	v_add_f16_e32 v77, v27, v77
	v_add_f16_e32 v26, v25, v67
	;; [unrolled: 1-line block ×6, first 2 shown]
	v_sub_f16_e32 v82, v64, v82
	v_sub_f16_e32 v28, v65, v73
	;; [unrolled: 1-line block ×4, first 2 shown]
	v_add_f16_e32 v40, v38, v39
	v_add_f16_e32 v62, v72, v74
	v_sub_f16_e32 v38, v39, v38
	v_sub_f16_e32 v39, v74, v72
	v_add_f16_e32 v64, v29, v26
	v_add_f16_e32 v65, v30, v27
	v_sub_f16_e32 v25, v25, v67
	v_sub_f16_e32 v66, v29, v26
	;; [unrolled: 1-line block ×7, first 2 shown]
	v_add_f16_e32 v71, v38, v31
	v_add_f16_e32 v72, v39, v37
	v_sub_f16_e32 v73, v38, v31
	v_sub_f16_e32 v74, v39, v37
	v_add_f16_e32 v40, v40, v64
	v_add_f16_e32 v62, v62, v65
	v_sub_f16_e32 v38, v25, v38
	v_sub_f16_e32 v39, v28, v39
	;; [unrolled: 1-line block ×4, first 2 shown]
	v_add_f16_e32 v64, v71, v25
	v_add_f16_e32 v65, v72, v28
	;; [unrolled: 1-line block ×4, first 2 shown]
	v_mul_f16_e32 v26, 0x3a52, v26
	v_mul_f16_e32 v27, 0x3a52, v27
	;; [unrolled: 1-line block ×6, first 2 shown]
	v_sub_f16_e32 v85, v81, v78
	v_add_f16_e32 v78, v78, v81
	v_mul_f16_e32 v73, 0x3b00, v31
	v_mul_f16_e32 v74, 0x3b00, v37
	v_fma_f16 v40, v40, s4, v24
	v_fma_f16 v62, v62, s4, v25
	;; [unrolled: 1-line block ×4, first 2 shown]
	v_fma_f16 v28, v66, s5, -v28
	v_fma_f16 v63, v67, s5, -v63
	;; [unrolled: 1-line block ×4, first 2 shown]
	v_fma_f16 v81, v38, s7, v71
	v_fma_f16 v71, v31, s1, -v71
	v_fma_f16 v37, v37, s1, -v72
	v_fma_f16 v92, v39, s7, v72
	v_fma_f16 v38, v38, s16, -v73
	v_fma_f16 v39, v39, s16, -v74
	v_add_f16_e32 v26, v29, v40
	v_add_f16_e32 v27, v30, v62
	;; [unrolled: 1-line block ×6, first 2 shown]
	v_fma_f16 v40, v64, s17, v71
	v_fma_f16 v62, v65, s17, v37
	v_mul_u32_u24_e32 v67, 0x15e, v75
	v_fma_f16 v29, v64, s17, v81
	v_fma_f16 v37, v64, s17, v38
	;; [unrolled: 1-line block ×3, first 2 shown]
	v_sub_f16_e32 v38, v72, v62
	v_add_f16_e32 v63, v40, v73
	v_add_f16_e32 v39, v62, v72
	v_sub_f16_e32 v64, v73, v40
	v_add_lshl_u32 v67, v67, v76, 2
	v_pack_b32_f16 v72, v79, v80
	v_pack_b32_f16 v73, v84, v85
	ds_write2_b32 v67, v72, v73 offset1:50
	v_pack_b32_f16 v72, v87, v88
	v_pack_b32_f16 v73, v89, v90
	v_fma_f16 v30, v65, s17, v92
	ds_write2_b32 v67, v72, v73 offset0:100 offset1:150
	v_pack_b32_f16 v72, v83, v86
	v_pack_b32_f16 v73, v91, v77
	v_sub_f16_e32 v40, v28, v71
	v_add_f16_e32 v62, v37, v31
	v_sub_f16_e32 v65, v26, v30
	v_add_f16_e32 v66, v29, v27
	s_movk_i32 s4, 0x15e
	ds_write2_b32 v67, v72, v73 offset0:200 offset1:250
	v_pack_b32_f16 v72, v82, v78
	ds_write_b32 v67, v72 offset:1200
	s_and_saveexec_b64 s[0:1], vcc
	s_cbranch_execz .LBB0_5
; %bb.4:
	v_sub_f16_e32 v27, v27, v29
	v_add_f16_e32 v26, v30, v26
	v_mad_legacy_u16 v29, v57, s4, v58
	s_mov_b32 s4, 0x5040100
	v_sub_f16_e32 v31, v31, v37
	v_add_f16_e32 v28, v71, v28
	v_lshlrev_b32_e32 v29, 2, v29
	v_perm_b32 v24, v25, v24, s4
	v_pack_b32_f16 v25, v26, v27
	ds_write2_b32 v29, v24, v25 offset1:50
	v_pack_b32_f16 v24, v28, v31
	v_perm_b32 v25, v63, v38, s4
	ds_write2_b32 v29, v24, v25 offset0:100 offset1:150
	v_perm_b32 v24, v64, v39, s4
	v_perm_b32 v25, v62, v40, s4
	ds_write2_b32 v29, v24, v25 offset0:200 offset1:250
	v_perm_b32 v24, v66, v65, s4
	ds_write_b32 v29, v24 offset:1200
.LBB0_5:
	s_or_b64 exec, exec, s[0:1]
	v_lshlrev_b32_e32 v24, 4, v50
	s_waitcnt lgkmcnt(0)
	s_barrier
	global_load_dwordx4 v[24:27], v24, s[14:15] offset:1392
	v_lshlrev_b32_e32 v28, 4, v61
	global_load_dwordx4 v[28:31], v28, s[14:15] offset:1392
	v_lshlrev_b32_e32 v75, 2, v50
	v_mov_b32_e32 v76, s13
	v_add_u32_e32 v72, 0x500, v52
	v_add_co_u32_e64 v83, s[0:1], s12, v75
	ds_read2_b32 v[73:74], v52 offset1:175
	v_add_u32_e32 v71, 0xa00, v52
	v_add_u32_e32 v61, 0x1000, v52
	;; [unrolled: 1-line block ×3, first 2 shown]
	v_addc_co_u32_e64 v84, s[0:1], 0, v76, s[0:1]
	ds_read2_b32 v[75:76], v72 offset0:30 offset1:205
	ds_read2_b32 v[77:78], v71 offset0:60 offset1:235
	;; [unrolled: 1-line block ×4, first 2 shown]
	s_movk_i32 s4, 0x3b9c
	s_waitcnt lgkmcnt(3)
	v_lshrrev_b32_e32 v87, 16, v75
	s_waitcnt lgkmcnt(2)
	v_lshrrev_b32_e32 v88, 16, v77
	;; [unrolled: 2-line block ×4, first 2 shown]
	s_mov_b32 s13, 0xbb9c
	s_movk_i32 s6, 0x38b4
	s_mov_b32 s7, 0xb8b4
	s_movk_i32 s5, 0x34f2
	v_lshrrev_b32_e32 v85, 16, v73
	v_lshrrev_b32_e32 v92, 16, v78
	;; [unrolled: 1-line block ×6, first 2 shown]
	s_movk_i32 s14, 0x1000
	s_movk_i32 s12, 0x1b58
	s_waitcnt vmcnt(1)
	v_mul_f16_sdwa v97, v88, v25 dst_sel:DWORD dst_unused:UNUSED_PAD src0_sel:DWORD src1_sel:WORD_1
	v_mul_f16_sdwa v99, v89, v26 dst_sel:DWORD dst_unused:UNUSED_PAD src0_sel:DWORD src1_sel:WORD_1
	;; [unrolled: 1-line block ×8, first 2 shown]
	v_fma_f16 v77, v77, v25, -v97
	v_fma_f16 v79, v79, v26, -v99
	;; [unrolled: 1-line block ×3, first 2 shown]
	v_fma_f16 v87, v87, v24, v96
	v_fma_f16 v81, v81, v27, -v101
	v_fma_f16 v90, v90, v27, v102
	v_add_f16_e32 v96, v77, v79
	v_fma_f16 v88, v88, v25, v98
	v_fma_f16 v89, v89, v26, v100
	v_sub_f16_e32 v97, v87, v90
	v_sub_f16_e32 v99, v75, v77
	;; [unrolled: 1-line block ×3, first 2 shown]
	v_fma_f16 v96, v96, -0.5, v73
	v_sub_f16_e32 v98, v88, v89
	v_add_f16_e32 v101, v75, v81
	v_add_f16_e32 v99, v99, v100
	v_fma_f16 v100, v97, s4, v96
	v_fma_f16 v96, v97, s13, v96
	v_add_f16_e32 v95, v73, v75
	v_fma_f16 v100, v98, s6, v100
	v_fma_f16 v96, v98, s7, v96
	v_fma_f16 v73, v101, -0.5, v73
	v_add_f16_e32 v95, v95, v77
	v_fma_f16 v100, v99, s5, v100
	v_fma_f16 v96, v99, s5, v96
	;; [unrolled: 1-line block ×4, first 2 shown]
	v_add_f16_e32 v98, v88, v89
	v_add_f16_e32 v95, v95, v79
	v_sub_f16_e32 v101, v77, v75
	v_sub_f16_e32 v102, v79, v81
	v_fma_f16 v98, v98, -0.5, v85
	v_sub_f16_e32 v75, v75, v81
	v_add_f16_e32 v95, v95, v81
	v_fma_f16 v99, v97, s6, v99
	v_add_f16_e32 v101, v101, v102
	v_fma_f16 v73, v97, s7, v73
	v_fma_f16 v81, v75, s13, v98
	v_sub_f16_e32 v77, v77, v79
	v_fma_f16 v99, v101, s5, v99
	v_fma_f16 v73, v101, s5, v73
	;; [unrolled: 1-line block ×3, first 2 shown]
	v_sub_f16_e32 v81, v87, v88
	v_sub_f16_e32 v101, v90, v89
	v_fma_f16 v98, v75, s4, v98
	v_add_f16_e32 v81, v81, v101
	v_fma_f16 v98, v77, s6, v98
	v_fma_f16 v79, v81, s5, v79
	;; [unrolled: 1-line block ×3, first 2 shown]
	v_add_f16_e32 v98, v87, v90
	s_waitcnt vmcnt(0)
	v_mul_f16_sdwa v105, v92, v29 dst_sel:DWORD dst_unused:UNUSED_PAD src0_sel:DWORD src1_sel:WORD_1
	v_mul_f16_sdwa v107, v93, v30 dst_sel:DWORD dst_unused:UNUSED_PAD src0_sel:DWORD src1_sel:WORD_1
	v_add_f16_e32 v97, v85, v87
	v_fma_f16 v85, v98, -0.5, v85
	v_mul_f16_sdwa v104, v76, v28 dst_sel:DWORD dst_unused:UNUSED_PAD src0_sel:DWORD src1_sel:WORD_1
	v_mul_f16_sdwa v106, v78, v29 dst_sel:DWORD dst_unused:UNUSED_PAD src0_sel:DWORD src1_sel:WORD_1
	;; [unrolled: 1-line block ×4, first 2 shown]
	v_fma_f16 v78, v78, v29, -v105
	v_fma_f16 v80, v80, v30, -v107
	v_add_f16_e32 v97, v97, v88
	v_fma_f16 v98, v77, s4, v85
	v_sub_f16_e32 v87, v88, v87
	v_sub_f16_e32 v88, v89, v90
	v_fma_f16 v77, v77, s13, v85
	v_mul_f16_sdwa v103, v91, v28 dst_sel:DWORD dst_unused:UNUSED_PAD src0_sel:DWORD src1_sel:WORD_1
	v_mul_f16_sdwa v109, v94, v31 dst_sel:DWORD dst_unused:UNUSED_PAD src0_sel:DWORD src1_sel:WORD_1
	v_fma_f16 v91, v91, v28, v104
	v_fma_f16 v94, v94, v31, v110
	v_fma_f16 v98, v75, s7, v98
	v_add_f16_e32 v87, v87, v88
	v_fma_f16 v75, v75, s6, v77
	v_add_f16_e32 v85, v78, v80
	v_fma_f16 v76, v76, v28, -v103
	v_fma_f16 v92, v92, v29, v106
	v_fma_f16 v93, v93, v30, v108
	v_fma_f16 v82, v82, v31, -v109
	v_add_f16_e32 v97, v97, v89
	v_fma_f16 v88, v87, s5, v98
	v_fma_f16 v75, v87, s5, v75
	v_fma_f16 v85, v85, -0.5, v74
	v_sub_f16_e32 v87, v91, v94
	v_add_f16_e32 v97, v97, v90
	v_fma_f16 v89, v87, s4, v85
	v_sub_f16_e32 v90, v92, v93
	v_sub_f16_e32 v98, v76, v78
	;; [unrolled: 1-line block ×3, first 2 shown]
	v_fma_f16 v85, v87, s13, v85
	v_fma_f16 v89, v90, s6, v89
	v_add_f16_e32 v98, v98, v101
	v_fma_f16 v85, v90, s7, v85
	v_fma_f16 v89, v98, s5, v89
	;; [unrolled: 1-line block ×3, first 2 shown]
	v_add_f16_e32 v98, v76, v82
	v_add_f16_e32 v77, v74, v76
	v_fma_f16 v74, v98, -0.5, v74
	v_add_f16_e32 v77, v77, v78
	v_fma_f16 v98, v90, s13, v74
	v_fma_f16 v74, v90, s4, v74
	v_add_f16_e32 v90, v92, v93
	v_add_f16_e32 v77, v77, v80
	v_sub_f16_e32 v101, v78, v76
	v_sub_f16_e32 v102, v80, v82
	v_fma_f16 v90, v90, -0.5, v86
	v_sub_f16_e32 v76, v76, v82
	v_add_f16_e32 v77, v77, v82
	v_fma_f16 v98, v87, s6, v98
	v_add_f16_e32 v101, v101, v102
	v_fma_f16 v74, v87, s7, v74
	v_fma_f16 v82, v76, s13, v90
	v_sub_f16_e32 v78, v78, v80
	v_fma_f16 v98, v101, s5, v98
	v_fma_f16 v74, v101, s5, v74
	;; [unrolled: 1-line block ×3, first 2 shown]
	v_sub_f16_e32 v82, v91, v92
	v_sub_f16_e32 v101, v94, v93
	v_fma_f16 v90, v76, s4, v90
	v_add_f16_e32 v87, v86, v91
	v_add_f16_e32 v82, v82, v101
	v_fma_f16 v90, v78, s6, v90
	v_add_f16_e32 v87, v87, v92
	v_fma_f16 v80, v82, s5, v80
	v_fma_f16 v82, v82, s5, v90
	v_add_f16_e32 v90, v91, v94
	v_add_f16_e32 v87, v87, v93
	v_fma_f16 v86, v90, -0.5, v86
	v_pack_b32_f16 v73, v73, v75
	v_add_f16_e32 v87, v87, v94
	v_fma_f16 v90, v78, s4, v86
	v_sub_f16_e32 v91, v92, v91
	v_sub_f16_e32 v92, v93, v94
	v_fma_f16 v78, v78, s13, v86
	v_pack_b32_f16 v79, v100, v79
	ds_write_b32 v52, v73 offset:4200
	v_pack_b32_f16 v73, v96, v81
	v_fma_f16 v90, v76, s7, v90
	v_add_f16_e32 v91, v91, v92
	v_fma_f16 v76, v76, s6, v78
	v_pack_b32_f16 v78, v95, v97
	ds_write_b32 v52, v79 offset:1400
	v_pack_b32_f16 v79, v99, v88
	ds_write_b32 v52, v73 offset:5600
	v_pack_b32_f16 v73, v77, v87
	v_fma_f16 v90, v91, s5, v90
	ds_write_b32 v52, v79 offset:2800
	ds_write2_b32 v52, v78, v73 offset1:175
	v_pack_b32_f16 v73, v89, v80
	v_fma_f16 v76, v91, s5, v76
	ds_write_b32 v52, v73 offset:2100
	v_pack_b32_f16 v73, v98, v90
	ds_write_b32 v52, v73 offset:3500
	v_pack_b32_f16 v73, v74, v76
	;; [unrolled: 2-line block ×3, first 2 shown]
	ds_write_b32 v52, v73 offset:6300
	v_add_co_u32_e64 v73, s[0:1], s14, v83
	v_addc_co_u32_e64 v74, s[0:1], 0, v84, s[0:1]
	s_waitcnt lgkmcnt(0)
	s_barrier
	global_load_dword v77, v[73:74], off offset:2904
	v_add_co_u32_e64 v73, s[0:1], s12, v83
	v_addc_co_u32_e64 v74, s[0:1], 0, v84, s[0:1]
	s_movk_i32 s0, 0x2000
	v_add_co_u32_e64 v75, s[0:1], s0, v83
	v_addc_co_u32_e64 v76, s[0:1], 0, v84, s[0:1]
	global_load_dword v78, v[75:76], off offset:3008
	global_load_dword v79, v[75:76], off offset:3708
	;; [unrolled: 1-line block ×6, first 2 shown]
	s_movk_i32 s0, 0x3000
	v_add_co_u32_e64 v75, s[0:1], s0, v83
	v_addc_co_u32_e64 v76, s[0:1], 0, v84, s[0:1]
	global_load_dword v83, v[75:76], off offset:312
	global_load_dword v84, v[73:74], off offset:2800
	;; [unrolled: 1-line block ×3, first 2 shown]
	ds_read2_b32 v[73:74], v52 offset1:175
	s_waitcnt lgkmcnt(0)
	v_lshrrev_b32_e32 v75, 16, v73
	s_waitcnt vmcnt(9)
	v_mul_f16_sdwa v76, v75, v77 dst_sel:DWORD dst_unused:UNUSED_PAD src0_sel:DWORD src1_sel:WORD_1
	v_fma_f16 v76, v73, v77, -v76
	v_mul_f16_sdwa v73, v73, v77 dst_sel:DWORD dst_unused:UNUSED_PAD src0_sel:DWORD src1_sel:WORD_1
	v_fma_f16 v73, v75, v77, v73
	v_pack_b32_f16 v73, v76, v73
	ds_write_b32 v52, v73
	ds_read2_b32 v[75:76], v71 offset0:60 offset1:235
	s_waitcnt lgkmcnt(0)
	v_lshrrev_b32_e32 v73, 16, v76
	s_waitcnt vmcnt(6)
	v_mul_f16_sdwa v77, v73, v80 dst_sel:DWORD dst_unused:UNUSED_PAD src0_sel:DWORD src1_sel:WORD_1
	v_fma_f16 v77, v76, v80, -v77
	v_mul_f16_sdwa v76, v76, v80 dst_sel:DWORD dst_unused:UNUSED_PAD src0_sel:DWORD src1_sel:WORD_1
	v_fma_f16 v73, v73, v80, v76
	v_pack_b32_f16 v80, v77, v73
	ds_read2_b32 v[76:77], v61 offset0:26 offset1:201
	v_lshrrev_b32_e32 v73, 16, v74
	s_waitcnt vmcnt(5)
	v_mul_f16_sdwa v87, v73, v81 dst_sel:DWORD dst_unused:UNUSED_PAD src0_sel:DWORD src1_sel:WORD_1
	v_fma_f16 v87, v74, v81, -v87
	v_mul_f16_sdwa v74, v74, v81 dst_sel:DWORD dst_unused:UNUSED_PAD src0_sel:DWORD src1_sel:WORD_1
	v_fma_f16 v73, v73, v81, v74
	v_pack_b32_f16 v81, v87, v73
	s_waitcnt lgkmcnt(0)
	v_lshrrev_b32_e32 v87, 16, v76
	v_mul_f16_sdwa v73, v87, v78 dst_sel:DWORD dst_unused:UNUSED_PAD src0_sel:DWORD src1_sel:WORD_1
	v_fma_f16 v88, v76, v78, -v73
	ds_read2_b32 v[73:74], v72 offset0:30 offset1:205
	v_mul_f16_sdwa v76, v76, v78 dst_sel:DWORD dst_unused:UNUSED_PAD src0_sel:DWORD src1_sel:WORD_1
	v_fma_f16 v76, v87, v78, v76
	v_pack_b32_f16 v76, v88, v76
	v_add_u32_e32 v78, 0xd00, v52
	ds_write2_b32 v78, v80, v76 offset0:43 offset1:218
	s_waitcnt lgkmcnt(1)
	v_lshrrev_b32_e32 v76, 16, v73
	s_waitcnt vmcnt(4)
	v_mul_f16_sdwa v78, v76, v82 dst_sel:DWORD dst_unused:UNUSED_PAD src0_sel:DWORD src1_sel:WORD_1
	v_fma_f16 v78, v73, v82, -v78
	v_mul_f16_sdwa v73, v73, v82 dst_sel:DWORD dst_unused:UNUSED_PAD src0_sel:DWORD src1_sel:WORD_1
	v_fma_f16 v73, v76, v82, v73
	v_pack_b32_f16 v73, v78, v73
	v_add_u32_e32 v76, 0x200, v52
	ds_write2_b32 v76, v81, v73 offset0:47 offset1:222
	v_lshrrev_b32_e32 v73, 16, v77
	v_mul_f16_sdwa v76, v73, v79 dst_sel:DWORD dst_unused:UNUSED_PAD src0_sel:DWORD src1_sel:WORD_1
	v_fma_f16 v76, v77, v79, -v76
	v_mul_f16_sdwa v77, v77, v79 dst_sel:DWORD dst_unused:UNUSED_PAD src0_sel:DWORD src1_sel:WORD_1
	v_fma_f16 v73, v73, v79, v77
	v_pack_b32_f16 v73, v76, v73
	ds_read2_b32 v[76:77], v37 offset0:56 offset1:231
	v_lshrrev_b32_e32 v78, 16, v74
	s_waitcnt vmcnt(3)
	v_mul_f16_sdwa v79, v78, v85 dst_sel:DWORD dst_unused:UNUSED_PAD src0_sel:DWORD src1_sel:WORD_1
	v_fma_f16 v79, v74, v85, -v79
	v_mul_f16_sdwa v74, v74, v85 dst_sel:DWORD dst_unused:UNUSED_PAD src0_sel:DWORD src1_sel:WORD_1
	v_fma_f16 v74, v78, v85, v74
	s_waitcnt lgkmcnt(0)
	v_lshrrev_b32_e32 v78, 16, v76
	v_pack_b32_f16 v74, v79, v74
	s_waitcnt vmcnt(2)
	v_mul_f16_sdwa v79, v78, v83 dst_sel:DWORD dst_unused:UNUSED_PAD src0_sel:DWORD src1_sel:WORD_1
	v_fma_f16 v79, v76, v83, -v79
	v_mul_f16_sdwa v76, v76, v83 dst_sel:DWORD dst_unused:UNUSED_PAD src0_sel:DWORD src1_sel:WORD_1
	v_fma_f16 v76, v78, v83, v76
	v_pack_b32_f16 v76, v79, v76
	v_add_u32_e32 v78, 0x1200, v52
	ds_write2_b32 v78, v73, v76 offset0:73 offset1:248
	v_lshrrev_b32_e32 v73, 16, v75
	s_waitcnt vmcnt(1)
	v_mul_f16_sdwa v76, v73, v84 dst_sel:DWORD dst_unused:UNUSED_PAD src0_sel:DWORD src1_sel:WORD_1
	v_fma_f16 v76, v75, v84, -v76
	v_mul_f16_sdwa v75, v75, v84 dst_sel:DWORD dst_unused:UNUSED_PAD src0_sel:DWORD src1_sel:WORD_1
	v_fma_f16 v73, v73, v84, v75
	v_pack_b32_f16 v73, v76, v73
	v_add_u32_e32 v75, 0x800, v52
	ds_write2_b32 v75, v74, v73 offset0:13 offset1:188
	v_lshrrev_b32_e32 v73, 16, v77
	s_waitcnt vmcnt(0)
	v_mul_f16_sdwa v74, v73, v86 dst_sel:DWORD dst_unused:UNUSED_PAD src0_sel:DWORD src1_sel:WORD_1
	v_mul_f16_sdwa v75, v77, v86 dst_sel:DWORD dst_unused:UNUSED_PAD src0_sel:DWORD src1_sel:WORD_1
	v_fma_f16 v74, v77, v86, -v74
	v_fma_f16 v73, v73, v86, v75
	v_pack_b32_f16 v73, v74, v73
	ds_write_b32 v52, v73 offset:6300
	s_waitcnt lgkmcnt(0)
	s_barrier
	ds_read2_b32 v[73:74], v52 offset1:175
	ds_read2_b32 v[75:76], v61 offset0:26 offset1:201
	ds_read2_b32 v[77:78], v72 offset0:30 offset1:205
	;; [unrolled: 1-line block ×4, first 2 shown]
	s_waitcnt lgkmcnt(0)
	v_pk_add_f16 v75, v74, v75 neg_lo:[0,1] neg_hi:[0,1]
	v_pk_add_f16 v84, v77, v76 neg_lo:[0,1] neg_hi:[0,1]
	v_pk_fma_f16 v83, v77, 2.0, v84 op_sel_hi:[1,0,1] neg_lo:[0,0,1] neg_hi:[0,0,1]
	v_pk_add_f16 v77, v78, v79 neg_lo:[0,1] neg_hi:[0,1]
	v_pk_add_f16 v79, v81, v80 neg_lo:[0,1] neg_hi:[0,1]
	v_pk_fma_f16 v76, v78, 2.0, v77 op_sel_hi:[1,0,1] neg_lo:[0,0,1] neg_hi:[0,0,1]
	v_pk_fma_f16 v78, v81, 2.0, v79 op_sel_hi:[1,0,1] neg_lo:[0,0,1] neg_hi:[0,0,1]
	v_pk_add_f16 v81, v73, v82 neg_lo:[0,1] neg_hi:[0,1]
	v_pk_fma_f16 v74, v74, 2.0, v75 op_sel_hi:[1,0,1] neg_lo:[0,0,1] neg_hi:[0,0,1]
	v_pk_fma_f16 v80, v73, 2.0, v81 op_sel_hi:[1,0,1] neg_lo:[0,0,1] neg_hi:[0,0,1]
	s_barrier
	ds_write_b64 v54, v[80:81]
	ds_write_b64 v53, v[74:75]
	;; [unrolled: 1-line block ×5, first 2 shown]
	s_waitcnt lgkmcnt(0)
	s_barrier
	ds_read2_b32 v[53:54], v52 offset1:175
	ds_read2_b32 v[68:69], v72 offset0:30 offset1:205
	ds_read2_b32 v[73:74], v71 offset0:60 offset1:235
	;; [unrolled: 1-line block ×4, first 2 shown]
	s_waitcnt lgkmcnt(4)
	v_lshrrev_b32_e32 v70, 16, v53
	s_waitcnt lgkmcnt(3)
	v_lshrrev_b32_e32 v79, 16, v68
	v_mul_f16_sdwa v88, v0, v79 dst_sel:DWORD dst_unused:UNUSED_PAD src0_sel:WORD_1 src1_sel:DWORD
	s_waitcnt lgkmcnt(2)
	v_lshrrev_b32_e32 v80, 16, v73
	v_fma_f16 v88, v0, v68, v88
	v_mul_f16_sdwa v68, v0, v68 dst_sel:DWORD dst_unused:UNUSED_PAD src0_sel:WORD_1 src1_sel:DWORD
	v_fma_f16 v0, v0, v79, -v68
	v_mul_f16_sdwa v68, v1, v80 dst_sel:DWORD dst_unused:UNUSED_PAD src0_sel:WORD_1 src1_sel:DWORD
	s_waitcnt lgkmcnt(1)
	v_lshrrev_b32_e32 v81, 16, v75
	v_fma_f16 v68, v1, v73, v68
	v_mul_f16_sdwa v73, v1, v73 dst_sel:DWORD dst_unused:UNUSED_PAD src0_sel:WORD_1 src1_sel:DWORD
	v_fma_f16 v1, v1, v80, -v73
	;; [unrolled: 6-line block ×3, first 2 shown]
	v_mul_f16_sdwa v75, v3, v82 dst_sel:DWORD dst_unused:UNUSED_PAD src0_sel:WORD_1 src1_sel:DWORD
	v_lshrrev_b32_e32 v84, 16, v69
	v_fma_f16 v75, v3, v77, v75
	v_mul_f16_sdwa v77, v3, v77 dst_sel:DWORD dst_unused:UNUSED_PAD src0_sel:WORD_1 src1_sel:DWORD
	v_fma_f16 v3, v3, v82, -v77
	v_mul_f16_sdwa v77, v4, v84 dst_sel:DWORD dst_unused:UNUSED_PAD src0_sel:WORD_1 src1_sel:DWORD
	v_lshrrev_b32_e32 v85, 16, v74
	v_fma_f16 v77, v4, v69, v77
	v_mul_f16_sdwa v69, v4, v69 dst_sel:DWORD dst_unused:UNUSED_PAD src0_sel:WORD_1 src1_sel:DWORD
	v_fma_f16 v4, v4, v84, -v69
	;; [unrolled: 5-line block ×3, first 2 shown]
	v_mul_f16_sdwa v74, v6, v86 dst_sel:DWORD dst_unused:UNUSED_PAD src0_sel:WORD_1 src1_sel:DWORD
	v_add_f16_e32 v79, v68, v73
	v_lshrrev_b32_e32 v87, 16, v78
	v_fma_f16 v74, v6, v76, v74
	v_mul_f16_sdwa v76, v6, v76 dst_sel:DWORD dst_unused:UNUSED_PAD src0_sel:WORD_1 src1_sel:DWORD
	v_fma_f16 v79, v79, -0.5, v53
	v_sub_f16_e32 v80, v0, v3
	v_fma_f16 v6, v6, v86, -v76
	v_mul_f16_sdwa v76, v7, v87 dst_sel:DWORD dst_unused:UNUSED_PAD src0_sel:WORD_1 src1_sel:DWORD
	v_fma_f16 v81, v80, s13, v79
	v_sub_f16_e32 v82, v1, v2
	v_sub_f16_e32 v84, v88, v68
	;; [unrolled: 1-line block ×3, first 2 shown]
	v_fma_f16 v79, v80, s4, v79
	v_fma_f16 v76, v7, v78, v76
	v_mul_f16_sdwa v78, v7, v78 dst_sel:DWORD dst_unused:UNUSED_PAD src0_sel:WORD_1 src1_sel:DWORD
	v_fma_f16 v81, v82, s7, v81
	v_add_f16_e32 v84, v84, v85
	v_fma_f16 v79, v82, s6, v79
	v_fma_f16 v7, v7, v87, -v78
	v_add_f16_e32 v78, v53, v88
	v_fma_f16 v81, v84, s5, v81
	v_fma_f16 v79, v84, s5, v79
	v_add_f16_e32 v84, v88, v75
	v_add_f16_e32 v78, v78, v68
	v_fma_f16 v53, v84, -0.5, v53
	v_add_f16_e32 v78, v78, v73
	v_fma_f16 v84, v82, s4, v53
	v_sub_f16_e32 v85, v68, v88
	v_sub_f16_e32 v86, v73, v75
	v_fma_f16 v53, v82, s13, v53
	v_add_f16_e32 v82, v1, v2
	v_add_f16_e32 v78, v78, v75
	v_fma_f16 v84, v80, s7, v84
	v_add_f16_e32 v85, v85, v86
	v_fma_f16 v53, v80, s6, v53
	v_fma_f16 v82, v82, -0.5, v70
	v_sub_f16_e32 v75, v88, v75
	v_fma_f16 v84, v85, s5, v84
	v_fma_f16 v53, v85, s5, v53
	;; [unrolled: 1-line block ×3, first 2 shown]
	v_sub_f16_e32 v68, v68, v73
	v_fma_f16 v73, v68, s6, v85
	v_sub_f16_e32 v85, v0, v1
	v_sub_f16_e32 v86, v3, v2
	v_fma_f16 v82, v75, s13, v82
	v_add_f16_e32 v80, v70, v0
	v_add_f16_e32 v85, v85, v86
	v_fma_f16 v82, v68, s7, v82
	v_add_f16_e32 v80, v80, v1
	v_fma_f16 v73, v85, s5, v73
	v_fma_f16 v82, v85, s5, v82
	v_add_f16_e32 v85, v0, v3
	v_add_f16_e32 v80, v80, v2
	v_fma_f16 v70, v85, -0.5, v70
	v_add_f16_e32 v80, v80, v3
	v_fma_f16 v85, v68, s13, v70
	v_sub_f16_e32 v0, v1, v0
	v_sub_f16_e32 v1, v2, v3
	v_add_f16_e32 v3, v69, v74
	v_fma_f16 v85, v75, s6, v85
	v_add_f16_e32 v0, v0, v1
	v_fma_f16 v2, v68, s4, v70
	v_fma_f16 v3, v3, -0.5, v54
	v_sub_f16_e32 v68, v4, v7
	v_fma_f16 v1, v0, s5, v85
	v_fma_f16 v2, v75, s7, v2
	v_fma_f16 v70, v68, s13, v3
	v_sub_f16_e32 v75, v5, v6
	v_sub_f16_e32 v85, v77, v69
	;; [unrolled: 1-line block ×3, first 2 shown]
	v_fma_f16 v3, v68, s4, v3
	v_fma_f16 v70, v75, s7, v70
	v_add_f16_e32 v85, v85, v86
	v_fma_f16 v3, v75, s6, v3
	v_fma_f16 v0, v0, s5, v2
	v_add_f16_e32 v2, v54, v77
	;; [unrolled: 3-line block ×3, first 2 shown]
	v_lshrrev_b32_e32 v83, 16, v54
	v_add_f16_e32 v2, v2, v69
	v_fma_f16 v54, v85, -0.5, v54
	v_add_f16_e32 v2, v2, v74
	v_fma_f16 v85, v75, s4, v54
	v_fma_f16 v54, v75, s13, v54
	v_add_f16_e32 v75, v5, v6
	v_add_f16_e32 v2, v2, v76
	v_sub_f16_e32 v86, v69, v77
	v_sub_f16_e32 v87, v74, v76
	v_fma_f16 v75, v75, -0.5, v83
	v_sub_f16_e32 v76, v77, v76
	v_fma_f16 v85, v68, s7, v85
	v_add_f16_e32 v86, v86, v87
	v_fma_f16 v54, v68, s6, v54
	v_fma_f16 v77, v76, s4, v75
	v_sub_f16_e32 v69, v69, v74
	v_fma_f16 v85, v86, s5, v85
	v_fma_f16 v54, v86, s5, v54
	;; [unrolled: 1-line block ×3, first 2 shown]
	v_sub_f16_e32 v77, v4, v5
	v_sub_f16_e32 v86, v7, v6
	v_fma_f16 v75, v76, s13, v75
	v_add_f16_e32 v77, v77, v86
	v_fma_f16 v75, v69, s7, v75
	v_add_f16_e32 v68, v83, v4
	v_fma_f16 v74, v77, s5, v74
	v_fma_f16 v75, v77, s5, v75
	v_add_f16_e32 v77, v4, v7
	v_add_f16_e32 v68, v68, v5
	v_fma_f16 v77, v77, -0.5, v83
	v_add_f16_e32 v68, v68, v6
	v_fma_f16 v83, v69, s13, v77
	v_sub_f16_e32 v4, v5, v4
	v_sub_f16_e32 v5, v6, v7
	v_fma_f16 v6, v69, s4, v77
	v_pack_b32_f16 v1, v84, v1
	v_pack_b32_f16 v0, v53, v0
	v_add_f16_e32 v68, v68, v7
	v_fma_f16 v83, v76, s6, v83
	v_add_f16_e32 v4, v4, v5
	v_fma_f16 v6, v76, s7, v6
	s_barrier
	ds_write2_b32 v55, v1, v0 offset0:4 offset1:6
	v_pack_b32_f16 v0, v79, v82
	v_fma_f16 v5, v4, s5, v83
	v_fma_f16 v4, v4, s5, v6
	v_pack_b32_f16 v6, v78, v80
	v_pack_b32_f16 v7, v81, v73
	ds_write_b32 v55, v0 offset:32
	v_pack_b32_f16 v0, v2, v68
	v_pack_b32_f16 v1, v70, v74
	ds_write2_b32 v55, v6, v7 offset1:2
	ds_write2_b32 v56, v0, v1 offset1:2
	v_pack_b32_f16 v0, v85, v5
	v_pack_b32_f16 v1, v54, v4
	ds_write2_b32 v56, v0, v1 offset0:4 offset1:6
	v_pack_b32_f16 v0, v3, v75
	ds_write_b32 v56, v0 offset:32
	s_waitcnt lgkmcnt(0)
	s_barrier
	ds_read2_b32 v[0:1], v52 offset1:175
	ds_read2_b32 v[2:3], v72 offset0:30 offset1:205
	ds_read2_b32 v[4:5], v71 offset0:60 offset1:235
	;; [unrolled: 1-line block ×4, first 2 shown]
	s_waitcnt lgkmcnt(4)
	v_lshrrev_b32_e32 v37, 16, v0
	s_waitcnt lgkmcnt(3)
	v_lshrrev_b32_e32 v55, 16, v2
	v_mul_f16_sdwa v74, v16, v55 dst_sel:DWORD dst_unused:UNUSED_PAD src0_sel:WORD_1 src1_sel:DWORD
	s_waitcnt lgkmcnt(2)
	v_lshrrev_b32_e32 v56, 16, v4
	v_fma_f16 v74, v16, v2, v74
	v_mul_f16_sdwa v2, v16, v2 dst_sel:DWORD dst_unused:UNUSED_PAD src0_sel:WORD_1 src1_sel:DWORD
	v_fma_f16 v2, v16, v55, -v2
	v_mul_f16_sdwa v16, v17, v56 dst_sel:DWORD dst_unused:UNUSED_PAD src0_sel:WORD_1 src1_sel:DWORD
	s_waitcnt lgkmcnt(1)
	v_lshrrev_b32_e32 v61, 16, v6
	v_fma_f16 v16, v17, v4, v16
	v_mul_f16_sdwa v4, v17, v4 dst_sel:DWORD dst_unused:UNUSED_PAD src0_sel:WORD_1 src1_sel:DWORD
	v_fma_f16 v4, v17, v56, -v4
	v_mul_f16_sdwa v17, v18, v61 dst_sel:DWORD dst_unused:UNUSED_PAD src0_sel:WORD_1 src1_sel:DWORD
	s_waitcnt lgkmcnt(0)
	v_lshrrev_b32_e32 v68, 16, v53
	v_fma_f16 v17, v18, v6, v17
	v_mul_f16_sdwa v6, v18, v6 dst_sel:DWORD dst_unused:UNUSED_PAD src0_sel:WORD_1 src1_sel:DWORD
	v_fma_f16 v6, v18, v61, -v6
	v_mul_f16_sdwa v18, v19, v68 dst_sel:DWORD dst_unused:UNUSED_PAD src0_sel:WORD_1 src1_sel:DWORD
	v_lshrrev_b32_e32 v70, 16, v3
	v_fma_f16 v18, v19, v53, v18
	v_mul_f16_sdwa v53, v19, v53 dst_sel:DWORD dst_unused:UNUSED_PAD src0_sel:WORD_1 src1_sel:DWORD
	v_fma_f16 v19, v19, v68, -v53
	v_mul_f16_sdwa v53, v8, v70 dst_sel:DWORD dst_unused:UNUSED_PAD src0_sel:WORD_1 src1_sel:DWORD
	v_lshrrev_b32_e32 v71, 16, v5
	v_fma_f16 v53, v8, v3, v53
	v_mul_f16_sdwa v3, v8, v3 dst_sel:DWORD dst_unused:UNUSED_PAD src0_sel:WORD_1 src1_sel:DWORD
	v_fma_f16 v3, v8, v70, -v3
	v_mul_f16_sdwa v8, v9, v71 dst_sel:DWORD dst_unused:UNUSED_PAD src0_sel:WORD_1 src1_sel:DWORD
	v_lshrrev_b32_e32 v72, 16, v7
	v_fma_f16 v8, v9, v5, v8
	v_mul_f16_sdwa v5, v9, v5 dst_sel:DWORD dst_unused:UNUSED_PAD src0_sel:WORD_1 src1_sel:DWORD
	v_add_f16_e32 v55, v16, v17
	v_fma_f16 v5, v9, v71, -v5
	v_mul_f16_sdwa v9, v10, v72 dst_sel:DWORD dst_unused:UNUSED_PAD src0_sel:WORD_1 src1_sel:DWORD
	v_fma_f16 v55, v55, -0.5, v0
	v_sub_f16_e32 v56, v2, v19
	v_lshrrev_b32_e32 v73, 16, v54
	v_fma_f16 v9, v10, v7, v9
	v_mul_f16_sdwa v7, v10, v7 dst_sel:DWORD dst_unused:UNUSED_PAD src0_sel:WORD_1 src1_sel:DWORD
	v_fma_f16 v61, v56, s13, v55
	v_sub_f16_e32 v68, v4, v6
	v_sub_f16_e32 v70, v74, v16
	;; [unrolled: 1-line block ×3, first 2 shown]
	v_fma_f16 v55, v56, s4, v55
	v_fma_f16 v7, v10, v72, -v7
	v_mul_f16_sdwa v10, v11, v73 dst_sel:DWORD dst_unused:UNUSED_PAD src0_sel:WORD_1 src1_sel:DWORD
	v_fma_f16 v61, v68, s7, v61
	v_add_f16_e32 v70, v70, v71
	v_fma_f16 v55, v68, s6, v55
	v_fma_f16 v10, v11, v54, v10
	v_mul_f16_sdwa v54, v11, v54 dst_sel:DWORD dst_unused:UNUSED_PAD src0_sel:WORD_1 src1_sel:DWORD
	v_fma_f16 v61, v70, s5, v61
	v_fma_f16 v55, v70, s5, v55
	v_add_f16_e32 v70, v74, v18
	v_fma_f16 v11, v11, v73, -v54
	v_add_f16_e32 v54, v0, v74
	v_fma_f16 v0, v70, -0.5, v0
	v_fma_f16 v70, v68, s4, v0
	v_sub_f16_e32 v71, v16, v74
	v_sub_f16_e32 v72, v17, v18
	v_fma_f16 v0, v68, s13, v0
	v_add_f16_e32 v71, v71, v72
	v_fma_f16 v0, v56, s6, v0
	v_fma_f16 v70, v56, s7, v70
	;; [unrolled: 1-line block ×3, first 2 shown]
	v_add_f16_e32 v0, v37, v2
	v_add_f16_e32 v0, v0, v4
	;; [unrolled: 1-line block ×8, first 2 shown]
	v_fma_f16 v0, v0, -0.5, v37
	v_sub_f16_e32 v18, v74, v18
	v_fma_f16 v70, v71, s5, v70
	v_fma_f16 v71, v18, s4, v0
	v_sub_f16_e32 v16, v16, v17
	v_fma_f16 v17, v16, s6, v71
	v_sub_f16_e32 v71, v2, v4
	v_sub_f16_e32 v72, v19, v6
	v_fma_f16 v0, v18, s13, v0
	v_add_f16_e32 v71, v71, v72
	v_fma_f16 v0, v16, s7, v0
	v_fma_f16 v17, v71, s5, v17
	;; [unrolled: 1-line block ×3, first 2 shown]
	v_add_f16_e32 v0, v2, v19
	v_fma_f16 v0, v0, -0.5, v37
	v_fma_f16 v37, v16, s13, v0
	v_sub_f16_e32 v2, v4, v2
	v_sub_f16_e32 v4, v6, v19
	v_fma_f16 v0, v16, s4, v0
	v_fma_f16 v37, v18, s6, v37
	v_add_f16_e32 v2, v2, v4
	v_fma_f16 v0, v18, s7, v0
	v_fma_f16 v4, v2, s5, v37
	;; [unrolled: 1-line block ×3, first 2 shown]
	v_add_f16_e32 v0, v1, v53
	v_add_f16_e32 v0, v0, v8
	;; [unrolled: 1-line block ×5, first 2 shown]
	v_fma_f16 v0, v0, -0.5, v1
	v_sub_f16_e32 v16, v3, v11
	v_fma_f16 v18, v16, s13, v0
	v_sub_f16_e32 v19, v5, v7
	v_sub_f16_e32 v37, v53, v8
	;; [unrolled: 1-line block ×3, first 2 shown]
	v_fma_f16 v0, v16, s4, v0
	v_fma_f16 v18, v19, s7, v18
	v_add_f16_e32 v37, v37, v72
	v_fma_f16 v0, v19, s6, v0
	v_fma_f16 v18, v37, s5, v18
	;; [unrolled: 1-line block ×3, first 2 shown]
	v_add_f16_e32 v0, v53, v10
	v_lshrrev_b32_e32 v69, 16, v1
	v_fma_f16 v1, v0, -0.5, v1
	v_fma_f16 v0, v19, s4, v1
	v_sub_f16_e32 v72, v8, v53
	v_sub_f16_e32 v73, v9, v10
	v_fma_f16 v1, v19, s13, v1
	v_add_f16_e32 v19, v5, v7
	v_fma_f16 v0, v16, s7, v0
	v_add_f16_e32 v72, v72, v73
	v_fma_f16 v1, v16, s6, v1
	v_fma_f16 v19, v19, -0.5, v69
	v_sub_f16_e32 v10, v53, v10
	v_fma_f16 v0, v72, s5, v0
	v_fma_f16 v1, v72, s5, v1
	v_fma_f16 v53, v10, s4, v19
	v_sub_f16_e32 v72, v8, v9
	v_fma_f16 v8, v72, s6, v53
	v_sub_f16_e32 v9, v3, v5
	v_sub_f16_e32 v53, v11, v7
	v_add_f16_e32 v9, v9, v53
	v_fma_f16 v53, v9, s5, v8
	v_fma_f16 v8, v10, s13, v19
	v_fma_f16 v8, v72, s7, v8
	v_add_f16_e32 v16, v69, v3
	v_fma_f16 v9, v9, s5, v8
	v_add_f16_e32 v8, v3, v11
	v_add_f16_e32 v16, v16, v5
	v_fma_f16 v19, v8, -0.5, v69
	v_sub_f16_e32 v3, v5, v3
	v_sub_f16_e32 v5, v7, v11
	v_fma_f16 v8, v72, s13, v19
	v_add_f16_e32 v3, v3, v5
	v_fma_f16 v5, v72, s4, v19
	v_fma_f16 v8, v10, s6, v8
	;; [unrolled: 1-line block ×5, first 2 shown]
	v_pack_b32_f16 v3, v54, v68
	v_pack_b32_f16 v5, v61, v17
	v_add_f16_e32 v16, v16, v7
	s_barrier
	ds_write2_b32 v59, v3, v5 offset1:10
	v_pack_b32_f16 v3, v70, v4
	v_pack_b32_f16 v2, v56, v2
	v_add_f16_e32 v16, v16, v11
	ds_write2_b32 v59, v3, v2 offset0:20 offset1:30
	v_pack_b32_f16 v2, v55, v71
	ds_write_b32 v59, v2 offset:160
	v_pack_b32_f16 v2, v6, v16
	v_pack_b32_f16 v3, v18, v53
	ds_write2_b32 v60, v2, v3 offset1:10
	v_pack_b32_f16 v2, v0, v8
	v_pack_b32_f16 v3, v1, v10
	ds_write2_b32 v60, v2, v3 offset0:20 offset1:30
	v_pack_b32_f16 v2, v37, v9
	v_add_u32_e32 v4, 0x7c0, v52
	ds_write_b32 v60, v2 offset:160
	s_waitcnt lgkmcnt(0)
	s_barrier
	ds_read2_b32 v[6:7], v4 offset0:4 offset1:254
	v_add_u32_e32 v4, 0xfa0, v52
	ds_read2_b32 v[2:3], v52 offset1:250
	ds_read2_b32 v[4:5], v4 offset1:250
	ds_read_b32 v11, v52 offset:6000
	s_and_saveexec_b64 s[0:1], vcc
	s_cbranch_execz .LBB0_7
; %bb.6:
	v_add_u32_e32 v0, 0x2b0, v52
	v_add_u32_e32 v8, 0xa80, v52
	ds_read2_b32 v[0:1], v0 offset0:3 offset1:253
	v_add_u32_e32 v9, 0x1250, v52
	ds_read2_b32 v[37:38], v8 offset0:3 offset1:253
	ds_read2_b32 v[39:40], v9 offset0:3 offset1:253
	ds_read_b32 v65, v52 offset:6700
	s_waitcnt lgkmcnt(3)
	v_lshrrev_b32_e32 v8, 16, v0
	v_lshrrev_b32_e32 v10, 16, v1
	s_waitcnt lgkmcnt(2)
	v_lshrrev_b32_e32 v9, 16, v37
	v_lshrrev_b32_e32 v63, 16, v38
	;; [unrolled: 3-line block ×3, first 2 shown]
	s_waitcnt lgkmcnt(0)
	v_lshrrev_b32_e32 v66, 16, v65
.LBB0_7:
	s_or_b64 exec, exec, s[0:1]
	s_waitcnt lgkmcnt(2)
	v_lshrrev_b32_e32 v16, 16, v3
	v_mul_f16_sdwa v55, v20, v16 dst_sel:DWORD dst_unused:UNUSED_PAD src0_sel:WORD_1 src1_sel:DWORD
	v_lshrrev_b32_e32 v17, 16, v6
	v_fma_f16 v55, v20, v3, v55
	v_mul_f16_sdwa v3, v20, v3 dst_sel:DWORD dst_unused:UNUSED_PAD src0_sel:WORD_1 src1_sel:DWORD
	v_fma_f16 v3, v20, v16, -v3
	v_mul_f16_sdwa v16, v21, v17 dst_sel:DWORD dst_unused:UNUSED_PAD src0_sel:WORD_1 src1_sel:DWORD
	v_lshrrev_b32_e32 v18, 16, v7
	v_fma_f16 v16, v21, v6, v16
	v_mul_f16_sdwa v6, v21, v6 dst_sel:DWORD dst_unused:UNUSED_PAD src0_sel:WORD_1 src1_sel:DWORD
	v_fma_f16 v6, v21, v17, -v6
	v_mul_f16_sdwa v17, v22, v18 dst_sel:DWORD dst_unused:UNUSED_PAD src0_sel:WORD_1 src1_sel:DWORD
	s_waitcnt lgkmcnt(1)
	v_lshrrev_b32_e32 v19, 16, v4
	v_fma_f16 v17, v22, v7, v17
	v_mul_f16_sdwa v7, v22, v7 dst_sel:DWORD dst_unused:UNUSED_PAD src0_sel:WORD_1 src1_sel:DWORD
	v_fma_f16 v7, v22, v18, -v7
	v_mul_f16_sdwa v18, v23, v19 dst_sel:DWORD dst_unused:UNUSED_PAD src0_sel:WORD_1 src1_sel:DWORD
	v_lshrrev_b32_e32 v53, 16, v5
	s_waitcnt lgkmcnt(0)
	v_lshrrev_b32_e32 v54, 16, v11
	v_fma_f16 v18, v23, v4, v18
	v_mul_f16_sdwa v4, v23, v4 dst_sel:DWORD dst_unused:UNUSED_PAD src0_sel:WORD_1 src1_sel:DWORD
	v_fma_f16 v4, v23, v19, -v4
	v_mul_f16_sdwa v19, v35, v53 dst_sel:DWORD dst_unused:UNUSED_PAD src0_sel:WORD_1 src1_sel:DWORD
	v_mul_f16_sdwa v20, v36, v54 dst_sel:DWORD dst_unused:UNUSED_PAD src0_sel:WORD_1 src1_sel:DWORD
	v_fma_f16 v19, v35, v5, v19
	v_mul_f16_sdwa v5, v35, v5 dst_sel:DWORD dst_unused:UNUSED_PAD src0_sel:WORD_1 src1_sel:DWORD
	v_fma_f16 v20, v36, v11, v20
	v_mul_f16_sdwa v11, v36, v11 dst_sel:DWORD dst_unused:UNUSED_PAD src0_sel:WORD_1 src1_sel:DWORD
	v_fma_f16 v5, v35, v53, -v5
	v_fma_f16 v11, v36, v54, -v11
	v_add_f16_e32 v21, v55, v20
	v_add_f16_e32 v22, v3, v11
	v_sub_f16_e32 v3, v3, v11
	v_add_f16_e32 v11, v16, v19
	v_add_f16_e32 v23, v6, v5
	v_sub_f16_e32 v16, v16, v19
	v_sub_f16_e32 v5, v6, v5
	v_add_f16_e32 v6, v17, v18
	v_add_f16_e32 v19, v7, v4
	v_sub_f16_e32 v17, v18, v17
	;; [unrolled: 4-line block ×3, first 2 shown]
	v_sub_f16_e32 v35, v11, v21
	v_sub_f16_e32 v36, v23, v22
	;; [unrolled: 1-line block ×6, first 2 shown]
	v_add_f16_e32 v53, v17, v16
	v_add_f16_e32 v54, v4, v5
	v_sub_f16_e32 v55, v17, v16
	v_sub_f16_e32 v56, v4, v5
	v_add_f16_e32 v6, v6, v7
	v_add_f16_e32 v7, v19, v18
	v_sub_f16_e32 v17, v20, v17
	v_sub_f16_e32 v4, v3, v4
	;; [unrolled: 1-line block ×4, first 2 shown]
	v_add_f16_e32 v18, v53, v20
	v_add_f16_e32 v3, v54, v3
	;; [unrolled: 1-line block ×3, first 2 shown]
	v_add_f16_sdwa v2, v2, v7 dst_sel:DWORD dst_unused:UNUSED_PAD src0_sel:WORD_1 src1_sel:DWORD
	v_mul_f16_e32 v20, 0x3a52, v21
	v_mul_f16_e32 v21, 0x3a52, v22
	s_movk_i32 s13, 0x2b26
	v_mul_f16_e32 v22, 0x2b26, v11
	v_mul_f16_e32 v53, 0x2b26, v23
	;; [unrolled: 1-line block ×4, first 2 shown]
	s_mov_b32 s14, 0xbcab
	s_movk_i32 s5, 0x39e0
	s_mov_b32 s6, 0xb9e0
	s_mov_b32 s15, 0xb574
	;; [unrolled: 1-line block ×3, first 2 shown]
	v_mul_f16_e32 v56, 0xbb00, v16
	v_mul_f16_e32 v59, 0xbb00, v5
	v_fma_f16 v6, v6, s14, v19
	v_fma_f16 v7, v7, s14, v2
	;; [unrolled: 1-line block ×4, first 2 shown]
	v_fma_f16 v22, v35, s5, -v22
	v_fma_f16 v53, v36, s5, -v53
	;; [unrolled: 1-line block ×4, first 2 shown]
	v_fma_f16 v35, v17, s15, v54
	v_fma_f16 v36, v4, s15, v55
	s_movk_i32 s7, 0x3574
	s_mov_b32 s12, 0xb70e
	v_fma_f16 v16, v16, s4, -v54
	v_fma_f16 v5, v5, s4, -v55
	;; [unrolled: 1-line block ×4, first 2 shown]
	v_add_f16_e32 v11, v11, v6
	v_add_f16_e32 v23, v23, v7
	;; [unrolled: 1-line block ×6, first 2 shown]
	v_fma_f16 v20, v18, s12, v35
	v_fma_f16 v21, v3, s12, v36
	;; [unrolled: 1-line block ×6, first 2 shown]
	v_add_f16_e32 v4, v21, v11
	v_sub_f16_e32 v18, v23, v20
	v_add_f16_e32 v35, v3, v6
	v_sub_f16_e32 v36, v7, v17
	v_sub_f16_e32 v54, v22, v5
	v_add_f16_e32 v55, v16, v53
	v_pack_b32_f16 v2, v19, v2
	v_pack_b32_f16 v4, v4, v18
	v_add_f16_e32 v5, v5, v22
	v_sub_f16_e32 v16, v53, v16
	v_sub_f16_e32 v3, v6, v3
	v_add_f16_e32 v6, v17, v7
	s_barrier
	ds_write2_b32 v67, v2, v4 offset1:50
	v_pack_b32_f16 v2, v35, v36
	v_pack_b32_f16 v4, v54, v55
	v_sub_f16_e32 v7, v11, v21
	v_add_f16_e32 v11, v20, v23
	ds_write2_b32 v67, v2, v4 offset0:100 offset1:150
	v_pack_b32_f16 v2, v5, v16
	v_pack_b32_f16 v3, v3, v6
	ds_write2_b32 v67, v2, v3 offset0:200 offset1:250
	v_pack_b32_f16 v2, v7, v11
	ds_write_b32 v67, v2 offset:1200
	s_and_saveexec_b64 s[0:1], vcc
	s_cbranch_execz .LBB0_9
; %bb.8:
	v_mul_f16_sdwa v2, v12, v10 dst_sel:DWORD dst_unused:UNUSED_PAD src0_sel:WORD_1 src1_sel:DWORD
	v_fma_f16 v2, v12, v1, v2
	v_mul_f16_sdwa v1, v12, v1 dst_sel:DWORD dst_unused:UNUSED_PAD src0_sel:WORD_1 src1_sel:DWORD
	v_mul_f16_sdwa v6, v14, v63 dst_sel:DWORD dst_unused:UNUSED_PAD src0_sel:WORD_1 src1_sel:DWORD
	;; [unrolled: 1-line block ×3, first 2 shown]
	v_fma_f16 v1, v12, v10, -v1
	v_mul_f16_sdwa v12, v14, v38 dst_sel:DWORD dst_unused:UNUSED_PAD src0_sel:WORD_1 src1_sel:DWORD
	v_mul_f16_sdwa v23, v33, v40 dst_sel:DWORD dst_unused:UNUSED_PAD src0_sel:WORD_1 src1_sel:DWORD
	;; [unrolled: 1-line block ×4, first 2 shown]
	v_fma_f16 v6, v14, v38, v6
	v_mul_f16_sdwa v16, v13, v9 dst_sel:DWORD dst_unused:UNUSED_PAD src0_sel:WORD_1 src1_sel:DWORD
	v_fma_f16 v17, v33, v40, v17
	v_mul_f16_sdwa v21, v34, v65 dst_sel:DWORD dst_unused:UNUSED_PAD src0_sel:WORD_1 src1_sel:DWORD
	v_fma_f16 v12, v14, v63, -v12
	v_mul_f16_sdwa v14, v15, v39 dst_sel:DWORD dst_unused:UNUSED_PAD src0_sel:WORD_1 src1_sel:DWORD
	v_fma_f16 v23, v33, v62, -v23
	v_mul_f16_sdwa v33, v13, v37 dst_sel:DWORD dst_unused:UNUSED_PAD src0_sel:WORD_1 src1_sel:DWORD
	v_fma_f16 v3, v34, v65, v3
	v_fma_f16 v5, v15, v39, v5
	;; [unrolled: 1-line block ×3, first 2 shown]
	v_fma_f16 v21, v34, v66, -v21
	v_fma_f16 v14, v15, v64, -v14
	;; [unrolled: 1-line block ×3, first 2 shown]
	v_sub_f16_e32 v4, v2, v3
	v_sub_f16_e32 v7, v5, v6
	;; [unrolled: 1-line block ×3, first 2 shown]
	v_add_f16_e32 v10, v21, v1
	v_add_f16_e32 v15, v12, v14
	;; [unrolled: 1-line block ×6, first 2 shown]
	v_sub_f16_e32 v1, v1, v21
	v_sub_f16_e32 v12, v14, v12
	;; [unrolled: 1-line block ×5, first 2 shown]
	v_add_f16_e32 v7, v7, v18
	v_add_f16_e32 v35, v13, v10
	;; [unrolled: 1-line block ×3, first 2 shown]
	v_sub_f16_e32 v14, v1, v12
	v_sub_f16_e32 v21, v12, v9
	v_add_f16_e32 v12, v12, v9
	v_add_f16_e32 v7, v7, v4
	v_sub_f16_e32 v22, v10, v15
	v_sub_f16_e32 v33, v15, v13
	v_add_f16_e32 v15, v15, v35
	v_sub_f16_e32 v5, v2, v3
	v_sub_f16_e32 v16, v3, v6
	v_add_f16_e32 v3, v3, v36
	v_add_f16_e32 v12, v12, v1
	v_sub_f16_e32 v4, v18, v4
	v_sub_f16_e32 v1, v9, v1
	v_mul_f16_e32 v19, 0x3846, v19
	v_mul_f16_e32 v22, 0x3a52, v22
	v_mul_f16_e32 v34, 0x2b26, v33
	v_add_f16_e32 v8, v8, v15
	v_mul_f16_e32 v5, 0x3a52, v5
	v_mul_f16_e32 v17, 0x2b26, v16
	v_add_f16_e32 v0, v0, v3
	v_mul_f16_e32 v21, 0x3846, v21
	v_mul_f16_e32 v18, 0xbb00, v4
	v_sub_f16_e32 v10, v13, v10
	v_sub_f16_e32 v2, v6, v2
	v_mul_f16_e32 v6, 0xbb00, v1
	v_fma_f16 v20, v11, s15, v19
	v_fma_f16 v33, v33, s13, v22
	;; [unrolled: 1-line block ×6, first 2 shown]
	v_fma_f16 v11, v11, s7, -v18
	v_fma_f16 v13, v10, s6, -v22
	;; [unrolled: 1-line block ×8, first 2 shown]
	v_fma_f16 v20, v7, s12, v20
	v_add_f16_e32 v33, v33, v15
	v_add_f16_e32 v16, v16, v3
	v_fma_f16 v23, v12, s12, v23
	v_fma_f16 v11, v7, s12, v11
	v_add_f16_e32 v13, v13, v15
	v_add_f16_e32 v5, v5, v3
	v_fma_f16 v6, v12, s12, v6
	v_add_f16_e32 v10, v10, v15
	v_fma_f16 v4, v7, s12, v4
	v_fma_f16 v1, v12, s12, v1
	v_add_f16_e32 v2, v2, v3
	s_movk_i32 s4, 0x15e
	v_add_f16_e32 v18, v11, v13
	v_sub_f16_e32 v9, v5, v6
	v_sub_f16_e32 v7, v10, v4
	v_add_f16_e32 v3, v1, v2
	v_add_f16_e32 v4, v4, v10
	v_sub_f16_e32 v1, v2, v1
	v_sub_f16_e32 v2, v13, v11
	v_add_f16_e32 v5, v6, v5
	v_sub_f16_e32 v6, v33, v20
	v_add_f16_e32 v10, v23, v16
	v_mad_legacy_u16 v11, v57, s4, v58
	v_lshlrev_b32_e32 v11, 2, v11
	v_pack_b32_f16 v0, v0, v8
	v_pack_b32_f16 v6, v10, v6
	ds_write2_b32 v11, v0, v6 offset1:50
	v_pack_b32_f16 v0, v5, v2
	v_pack_b32_f16 v1, v1, v4
	v_add_f16_e32 v35, v20, v33
	v_sub_f16_e32 v36, v16, v23
	ds_write2_b32 v11, v0, v1 offset0:100 offset1:150
	v_pack_b32_f16 v0, v3, v7
	v_pack_b32_f16 v1, v9, v18
	ds_write2_b32 v11, v0, v1 offset0:200 offset1:250
	v_pack_b32_f16 v0, v36, v35
	ds_write_b32 v11, v0 offset:1200
.LBB0_9:
	s_or_b64 exec, exec, s[0:1]
	v_add_u32_e32 v4, 0x500, v52
	s_waitcnt lgkmcnt(0)
	s_barrier
	ds_read2_b32 v[6:7], v4 offset0:30 offset1:205
	v_add_u32_e32 v14, 0xa00, v52
	ds_read2_b32 v[8:9], v14 offset0:60 offset1:235
	v_add_u32_e32 v5, 0x1000, v52
	;; [unrolled: 2-line block ×3, first 2 shown]
	s_waitcnt lgkmcnt(2)
	v_lshrrev_b32_e32 v15, 16, v6
	ds_read2_b32 v[12:13], v3 offset0:56 offset1:231
	v_mul_f16_sdwa v33, v24, v15 dst_sel:DWORD dst_unused:UNUSED_PAD src0_sel:WORD_1 src1_sel:DWORD
	s_waitcnt lgkmcnt(2)
	v_lshrrev_b32_e32 v16, 16, v8
	v_fma_f16 v33, v24, v6, v33
	v_mul_f16_sdwa v6, v24, v6 dst_sel:DWORD dst_unused:UNUSED_PAD src0_sel:WORD_1 src1_sel:DWORD
	v_fma_f16 v6, v24, v15, -v6
	v_mul_f16_sdwa v15, v25, v16 dst_sel:DWORD dst_unused:UNUSED_PAD src0_sel:WORD_1 src1_sel:DWORD
	s_waitcnt lgkmcnt(1)
	v_lshrrev_b32_e32 v17, 16, v10
	v_fma_f16 v15, v25, v8, v15
	v_mul_f16_sdwa v8, v25, v8 dst_sel:DWORD dst_unused:UNUSED_PAD src0_sel:WORD_1 src1_sel:DWORD
	v_fma_f16 v8, v25, v16, -v8
	;; [unrolled: 6-line block ×3, first 2 shown]
	v_mul_f16_sdwa v17, v27, v18 dst_sel:DWORD dst_unused:UNUSED_PAD src0_sel:WORD_1 src1_sel:DWORD
	v_lshrrev_b32_e32 v20, 16, v7
	v_fma_f16 v17, v27, v12, v17
	v_mul_f16_sdwa v12, v27, v12 dst_sel:DWORD dst_unused:UNUSED_PAD src0_sel:WORD_1 src1_sel:DWORD
	ds_read2_b32 v[0:1], v52 offset1:175
	v_fma_f16 v12, v27, v18, -v12
	v_mul_f16_sdwa v18, v28, v20 dst_sel:DWORD dst_unused:UNUSED_PAD src0_sel:WORD_1 src1_sel:DWORD
	v_lshrrev_b32_e32 v21, 16, v9
	v_fma_f16 v18, v28, v7, v18
	v_mul_f16_sdwa v7, v28, v7 dst_sel:DWORD dst_unused:UNUSED_PAD src0_sel:WORD_1 src1_sel:DWORD
	v_fma_f16 v7, v28, v20, -v7
	v_mul_f16_sdwa v20, v29, v21 dst_sel:DWORD dst_unused:UNUSED_PAD src0_sel:WORD_1 src1_sel:DWORD
	v_lshrrev_b32_e32 v22, 16, v11
	v_fma_f16 v20, v29, v9, v20
	v_mul_f16_sdwa v9, v29, v9 dst_sel:DWORD dst_unused:UNUSED_PAD src0_sel:WORD_1 src1_sel:DWORD
	v_fma_f16 v9, v29, v21, -v9
	v_mul_f16_sdwa v21, v30, v22 dst_sel:DWORD dst_unused:UNUSED_PAD src0_sel:WORD_1 src1_sel:DWORD
	v_add_f16_e32 v24, v15, v16
	v_lshrrev_b32_e32 v23, 16, v13
	v_fma_f16 v21, v30, v11, v21
	v_mul_f16_sdwa v11, v30, v11 dst_sel:DWORD dst_unused:UNUSED_PAD src0_sel:WORD_1 src1_sel:DWORD
	s_waitcnt lgkmcnt(0)
	v_fma_f16 v24, v24, -0.5, v0
	v_sub_f16_e32 v25, v6, v12
	s_mov_b32 s0, 0xbb9c
	s_movk_i32 s5, 0x3b9c
	v_fma_f16 v11, v30, v22, -v11
	v_mul_f16_sdwa v22, v31, v23 dst_sel:DWORD dst_unused:UNUSED_PAD src0_sel:WORD_1 src1_sel:DWORD
	v_fma_f16 v26, v25, s0, v24
	v_sub_f16_e32 v27, v8, v10
	s_mov_b32 s1, 0xb8b4
	v_sub_f16_e32 v28, v33, v15
	v_sub_f16_e32 v29, v17, v16
	v_fma_f16 v24, v25, s5, v24
	s_movk_i32 s6, 0x38b4
	v_fma_f16 v22, v31, v13, v22
	v_mul_f16_sdwa v13, v31, v13 dst_sel:DWORD dst_unused:UNUSED_PAD src0_sel:WORD_1 src1_sel:DWORD
	v_fma_f16 v26, v27, s1, v26
	v_add_f16_e32 v28, v28, v29
	s_movk_i32 s4, 0x34f2
	v_fma_f16 v24, v27, s6, v24
	v_fma_f16 v13, v31, v23, -v13
	v_add_f16_e32 v23, v0, v33
	v_fma_f16 v26, v28, s4, v26
	v_fma_f16 v24, v28, s4, v24
	v_add_f16_e32 v28, v33, v17
	v_lshrrev_b32_e32 v2, 16, v0
	v_add_f16_e32 v23, v23, v15
	v_fma_f16 v0, v28, -0.5, v0
	v_add_f16_e32 v23, v23, v16
	v_fma_f16 v28, v27, s5, v0
	v_sub_f16_e32 v29, v15, v33
	v_sub_f16_e32 v30, v16, v17
	v_fma_f16 v0, v27, s0, v0
	v_add_f16_e32 v27, v8, v10
	v_add_f16_e32 v23, v23, v17
	v_fma_f16 v28, v25, s1, v28
	v_add_f16_e32 v29, v29, v30
	v_fma_f16 v0, v25, s6, v0
	v_fma_f16 v27, v27, -0.5, v2
	v_sub_f16_e32 v17, v33, v17
	v_fma_f16 v28, v29, s4, v28
	v_fma_f16 v0, v29, s4, v0
	v_fma_f16 v29, v17, s5, v27
	v_sub_f16_e32 v15, v15, v16
	v_fma_f16 v16, v15, s6, v29
	v_sub_f16_e32 v29, v6, v8
	v_sub_f16_e32 v30, v12, v10
	v_fma_f16 v27, v17, s0, v27
	v_add_f16_e32 v29, v29, v30
	v_fma_f16 v27, v15, s1, v27
	v_add_f16_e32 v25, v2, v6
	v_fma_f16 v16, v29, s4, v16
	v_fma_f16 v27, v29, s4, v27
	v_add_f16_e32 v29, v6, v12
	v_add_f16_e32 v25, v25, v8
	v_fma_f16 v2, v29, -0.5, v2
	v_add_f16_e32 v25, v25, v10
	v_fma_f16 v29, v15, s0, v2
	v_sub_f16_e32 v6, v8, v6
	v_sub_f16_e32 v8, v10, v12
	v_add_f16_e32 v10, v20, v21
	v_add_f16_e32 v25, v25, v12
	v_fma_f16 v29, v17, s6, v29
	v_add_f16_e32 v6, v6, v8
	v_fma_f16 v2, v15, s5, v2
	v_fma_f16 v10, v10, -0.5, v1
	v_sub_f16_e32 v12, v7, v13
	v_fma_f16 v8, v6, s4, v29
	v_fma_f16 v2, v17, s1, v2
	;; [unrolled: 1-line block ×3, first 2 shown]
	v_sub_f16_e32 v17, v9, v11
	v_sub_f16_e32 v29, v18, v20
	v_sub_f16_e32 v30, v22, v21
	v_fma_f16 v10, v12, s5, v10
	v_fma_f16 v15, v17, s1, v15
	v_add_f16_e32 v29, v29, v30
	v_fma_f16 v10, v17, s6, v10
	v_fma_f16 v15, v29, s4, v15
	;; [unrolled: 1-line block ×3, first 2 shown]
	v_add_f16_e32 v29, v18, v22
	v_lshrrev_b32_e32 v19, 16, v1
	v_fma_f16 v2, v6, s4, v2
	v_add_f16_e32 v6, v1, v18
	v_fma_f16 v1, v29, -0.5, v1
	v_add_f16_e32 v6, v6, v20
	v_fma_f16 v29, v17, s5, v1
	v_fma_f16 v1, v17, s0, v1
	v_add_f16_e32 v17, v9, v11
	v_add_f16_e32 v6, v6, v21
	v_sub_f16_e32 v30, v20, v18
	v_sub_f16_e32 v31, v21, v22
	v_fma_f16 v17, v17, -0.5, v19
	v_sub_f16_e32 v18, v18, v22
	v_add_f16_e32 v6, v6, v22
	v_fma_f16 v29, v12, s1, v29
	v_add_f16_e32 v30, v30, v31
	v_fma_f16 v1, v12, s6, v1
	v_fma_f16 v22, v18, s5, v17
	v_sub_f16_e32 v20, v20, v21
	v_fma_f16 v29, v30, s4, v29
	v_fma_f16 v1, v30, s4, v1
	;; [unrolled: 1-line block ×3, first 2 shown]
	v_sub_f16_e32 v22, v7, v9
	v_sub_f16_e32 v30, v13, v11
	v_fma_f16 v17, v18, s0, v17
	v_add_f16_e32 v22, v22, v30
	v_fma_f16 v17, v20, s1, v17
	v_add_f16_e32 v12, v19, v7
	v_fma_f16 v21, v22, s4, v21
	v_fma_f16 v17, v22, s4, v17
	v_add_f16_e32 v22, v7, v13
	v_add_f16_e32 v12, v12, v9
	v_fma_f16 v19, v22, -0.5, v19
	v_add_f16_e32 v12, v12, v11
	v_fma_f16 v22, v20, s0, v19
	v_sub_f16_e32 v7, v9, v7
	v_sub_f16_e32 v9, v11, v13
	v_fma_f16 v11, v20, s5, v19
	v_pack_b32_f16 v0, v0, v2
	v_add_f16_e32 v12, v12, v13
	v_fma_f16 v22, v18, s6, v22
	v_add_f16_e32 v7, v7, v9
	v_fma_f16 v11, v18, s1, v11
	ds_write_b32 v52, v0 offset:4200
	v_pack_b32_f16 v0, v24, v27
	v_fma_f16 v9, v7, s4, v22
	v_fma_f16 v7, v7, s4, v11
	v_pack_b32_f16 v11, v23, v25
	v_pack_b32_f16 v13, v26, v16
	;; [unrolled: 1-line block ×3, first 2 shown]
	ds_write_b32 v52, v0 offset:5600
	v_pack_b32_f16 v0, v6, v12
	ds_write_b32 v52, v13 offset:1400
	ds_write_b32 v52, v8 offset:2800
	ds_write2_b32 v52, v11, v0 offset1:175
	v_pack_b32_f16 v0, v15, v21
	ds_write_b32 v52, v0 offset:2100
	v_pack_b32_f16 v0, v29, v9
	ds_write_b32 v52, v0 offset:3500
	;; [unrolled: 2-line block ×4, first 2 shown]
	s_waitcnt lgkmcnt(0)
	s_barrier
	ds_read2_b32 v[6:7], v52 offset1:175
	s_mov_b32 s4, 0x835d548e
	s_mov_b32 s5, 0x3f42b97d
	v_mad_u64_u32 v[8:9], s[0:1], s10, v32, 0
	s_waitcnt lgkmcnt(0)
	v_lshrrev_b32_e32 v11, 16, v6
	v_mul_f16_sdwa v0, v51, v11 dst_sel:DWORD dst_unused:UNUSED_PAD src0_sel:WORD_1 src1_sel:DWORD
	v_fma_f16 v0, v51, v6, v0
	v_cvt_f32_f16_e32 v0, v0
	s_movk_i32 s6, 0x1ff
	v_mov_b32_e32 v2, v9
	v_mad_u64_u32 v[9:10], s[0:1], s11, v32, v[2:3]
	v_cvt_f64_f32_e32 v[0:1], v0
	s_movk_i32 s7, 0xffe
	v_mul_f16_sdwa v6, v51, v6 dst_sel:DWORD dst_unused:UNUSED_PAD src0_sel:WORD_1 src1_sel:DWORD
	v_fma_f16 v6, v51, v11, -v6
	v_mul_f64 v[0:1], v[0:1], s[4:5]
	v_cvt_f32_f16_e32 v6, v6
	s_movk_i32 s10, 0x40f
	s_mov_b32 s11, 0x8000
	v_lshlrev_b64 v[8:9], 2, v[8:9]
	v_and_or_b32 v0, v1, s6, v0
	v_cmp_ne_u32_e32 vcc, 0, v0
	v_cndmask_b32_e64 v0, 0, 1, vcc
	v_lshrrev_b32_e32 v2, 8, v1
	v_bfe_u32 v10, v1, 20, 11
	v_and_or_b32 v0, v2, s7, v0
	v_sub_u32_e32 v12, 0x3f1, v10
	v_or_b32_e32 v2, 0x1000, v0
	v_med3_i32 v12, v12, 0, 13
	v_lshrrev_b32_e32 v13, v12, v2
	v_lshlrev_b32_e32 v12, v12, v13
	v_cmp_ne_u32_e32 vcc, v12, v2
	v_cndmask_b32_e64 v2, 0, 1, vcc
	v_add_u32_e32 v12, 0xfffffc10, v10
	v_or_b32_e32 v2, v13, v2
	v_lshl_or_b32 v10, v12, 12, v0
	v_cmp_gt_i32_e32 vcc, 1, v12
	v_cndmask_b32_e32 v2, v10, v2, vcc
	v_and_b32_e32 v10, 7, v2
	v_cmp_lt_i32_e32 vcc, 5, v10
	v_cmp_eq_u32_e64 s[0:1], 3, v10
	v_cvt_f64_f32_e32 v[10:11], v6
	v_lshrrev_b32_e32 v2, 2, v2
	s_or_b64 vcc, s[0:1], vcc
	v_addc_co_u32_e32 v13, vcc, 0, v2, vcc
	v_mul_f64 v[10:11], v[10:11], s[4:5]
	v_mov_b32_e32 v2, 0x7c00
	v_cmp_gt_i32_e32 vcc, 31, v12
	v_cndmask_b32_e32 v6, v2, v13, vcc
	v_cmp_ne_u32_e32 vcc, 0, v0
	v_cndmask_b32_e64 v0, 0, 1, vcc
	v_lshl_or_b32 v0, v0, 9, v2
	v_cmp_eq_u32_e32 vcc, s10, v12
	v_cndmask_b32_e32 v0, v6, v0, vcc
	v_lshrrev_b32_e32 v1, 16, v1
	v_and_or_b32 v15, v1, s11, v0
	v_and_or_b32 v0, v11, s6, v10
	v_cmp_ne_u32_e32 vcc, 0, v0
	v_cndmask_b32_e64 v0, 0, 1, vcc
	v_lshrrev_b32_e32 v1, 8, v11
	v_bfe_u32 v6, v11, 20, 11
	v_and_or_b32 v0, v1, s7, v0
	v_sub_u32_e32 v10, 0x3f1, v6
	v_or_b32_e32 v1, 0x1000, v0
	v_med3_i32 v10, v10, 0, 13
	v_lshrrev_b32_e32 v12, v10, v1
	v_lshlrev_b32_e32 v10, v10, v12
	v_cmp_ne_u32_e32 vcc, v10, v1
	v_cndmask_b32_e64 v1, 0, 1, vcc
	v_add_u32_e32 v6, 0xfffffc10, v6
	v_or_b32_e32 v1, v12, v1
	v_lshl_or_b32 v10, v6, 12, v0
	v_cmp_gt_i32_e32 vcc, 1, v6
	v_cndmask_b32_e32 v1, v10, v1, vcc
	v_and_b32_e32 v10, 7, v1
	v_cmp_lt_i32_e32 vcc, 5, v10
	v_cmp_eq_u32_e64 s[0:1], 3, v10
	v_lshrrev_b32_e32 v1, 2, v1
	s_or_b64 vcc, s[0:1], vcc
	v_addc_co_u32_e32 v1, vcc, 0, v1, vcc
	v_cmp_gt_i32_e32 vcc, 31, v6
	v_cndmask_b32_e32 v1, v2, v1, vcc
	v_cmp_ne_u32_e32 vcc, 0, v0
	v_cndmask_b32_e64 v0, 0, 1, vcc
	v_lshl_or_b32 v0, v0, 9, v2
	v_cmp_eq_u32_e32 vcc, s10, v6
	v_mad_u64_u32 v[12:13], s[0:1], s8, v50, 0
	v_cndmask_b32_e32 v16, v1, v0, vcc
	ds_read2_b32 v[0:1], v14 offset0:60 offset1:235
	v_mov_b32_e32 v6, v13
	v_lshrrev_b32_e32 v14, 16, v11
	v_mad_u64_u32 v[10:11], s[0:1], s9, v50, v[6:7]
	s_waitcnt lgkmcnt(0)
	v_lshrrev_b32_e32 v6, 16, v1
	v_mul_f16_sdwa v11, v49, v6 dst_sel:DWORD dst_unused:UNUSED_PAD src0_sel:WORD_1 src1_sel:DWORD
	v_fma_f16 v11, v49, v1, v11
	v_cvt_f32_f16_e32 v11, v11
	v_mov_b32_e32 v13, v10
	v_and_or_b32 v14, v14, s11, v16
	v_and_b32_e32 v15, 0xffff, v15
	v_cvt_f64_f32_e32 v[10:11], v11
	v_lshl_or_b32 v14, v14, 16, v15
	v_mov_b32_e32 v15, s3
	v_add_co_u32_e32 v16, vcc, s2, v8
	v_mul_f64 v[10:11], v[10:11], s[4:5]
	v_addc_co_u32_e32 v15, vcc, v15, v9, vcc
	v_lshlrev_b64 v[8:9], 2, v[12:13]
	v_mul_f16_sdwa v1, v49, v1 dst_sel:DWORD dst_unused:UNUSED_PAD src0_sel:WORD_1 src1_sel:DWORD
	v_add_co_u32_e32 v8, vcc, v16, v8
	v_addc_co_u32_e32 v9, vcc, v15, v9, vcc
	v_and_or_b32 v10, v11, s6, v10
	v_cmp_ne_u32_e32 vcc, 0, v10
	v_cndmask_b32_e64 v10, 0, 1, vcc
	v_lshrrev_b32_e32 v12, 8, v11
	v_bfe_u32 v13, v11, 20, 11
	global_store_dword v[8:9], v14, off
	v_and_or_b32 v10, v12, s7, v10
	v_sub_u32_e32 v14, 0x3f1, v13
	v_or_b32_e32 v12, 0x1000, v10
	v_med3_i32 v14, v14, 0, 13
	v_lshrrev_b32_e32 v15, v14, v12
	v_lshlrev_b32_e32 v14, v14, v15
	v_cmp_ne_u32_e32 vcc, v14, v12
	v_fma_f16 v1, v49, v6, -v1
	v_cndmask_b32_e64 v12, 0, 1, vcc
	v_add_u32_e32 v14, 0xfffffc10, v13
	v_cvt_f32_f16_e32 v1, v1
	v_or_b32_e32 v12, v15, v12
	v_lshl_or_b32 v13, v14, 12, v10
	v_cmp_gt_i32_e32 vcc, 1, v14
	v_cndmask_b32_e32 v12, v13, v12, vcc
	v_and_b32_e32 v13, 7, v12
	v_cmp_lt_i32_e32 vcc, 5, v13
	v_cmp_eq_u32_e64 s[0:1], 3, v13
	v_lshrrev_b32_e32 v6, 2, v12
	v_cvt_f64_f32_e32 v[12:13], v1
	s_or_b64 vcc, s[0:1], vcc
	v_addc_co_u32_e32 v1, vcc, 0, v6, vcc
	v_mul_f64 v[12:13], v[12:13], s[4:5]
	v_cmp_gt_i32_e32 vcc, 31, v14
	v_cndmask_b32_e32 v1, v2, v1, vcc
	v_cmp_ne_u32_e32 vcc, 0, v10
	v_cndmask_b32_e64 v6, 0, 1, vcc
	v_lshl_or_b32 v6, v6, 9, v2
	v_cmp_eq_u32_e32 vcc, s10, v14
	v_cndmask_b32_e32 v1, v1, v6, vcc
	v_lshrrev_b32_e32 v6, 16, v11
	v_and_or_b32 v1, v6, s11, v1
	v_and_or_b32 v6, v13, s6, v12
	v_cmp_ne_u32_e32 vcc, 0, v6
	v_cndmask_b32_e64 v6, 0, 1, vcc
	v_lshrrev_b32_e32 v10, 8, v13
	v_bfe_u32 v11, v13, 20, 11
	v_and_or_b32 v6, v10, s7, v6
	v_sub_u32_e32 v12, 0x3f1, v11
	v_or_b32_e32 v10, 0x1000, v6
	v_med3_i32 v12, v12, 0, 13
	v_lshrrev_b32_e32 v14, v12, v10
	v_lshlrev_b32_e32 v12, v12, v14
	v_cmp_ne_u32_e32 vcc, v12, v10
	v_cndmask_b32_e64 v10, 0, 1, vcc
	v_add_u32_e32 v11, 0xfffffc10, v11
	v_or_b32_e32 v10, v14, v10
	v_lshl_or_b32 v12, v11, 12, v6
	v_cmp_gt_i32_e32 vcc, 1, v11
	v_cndmask_b32_e32 v10, v12, v10, vcc
	v_and_b32_e32 v12, 7, v10
	v_cmp_lt_i32_e32 vcc, 5, v12
	v_cmp_eq_u32_e64 s[0:1], 3, v12
	v_lshrrev_b32_e32 v10, 2, v10
	s_or_b64 vcc, s[0:1], vcc
	v_addc_co_u32_e32 v10, vcc, 0, v10, vcc
	v_cmp_gt_i32_e32 vcc, 31, v11
	v_cndmask_b32_e32 v10, v2, v10, vcc
	v_cmp_ne_u32_e32 vcc, 0, v6
	v_lshrrev_b32_e32 v12, 16, v7
	v_cndmask_b32_e64 v6, 0, 1, vcc
	v_cmp_eq_u32_e32 vcc, s10, v11
	v_mul_f16_sdwa v11, v48, v12 dst_sel:DWORD dst_unused:UNUSED_PAD src0_sel:WORD_1 src1_sel:DWORD
	v_fma_f16 v11, v48, v7, v11
	v_cvt_f32_f16_e32 v11, v11
	v_lshl_or_b32 v6, v6, 9, v2
	v_cndmask_b32_e32 v6, v10, v6, vcc
	v_lshrrev_b32_e32 v10, 16, v13
	v_and_or_b32 v6, v10, s11, v6
	v_cvt_f64_f32_e32 v[10:11], v11
	s_mul_i32 s0, s9, 0xdac
	s_mul_hi_u32 s2, s8, 0xdac
	v_and_b32_e32 v1, 0xffff, v1
	v_mul_f64 v[10:11], v[10:11], s[4:5]
	s_add_i32 s2, s2, s0
	s_mul_i32 s3, s8, 0xdac
	v_lshl_or_b32 v1, v6, 16, v1
	v_mov_b32_e32 v6, s2
	v_add_co_u32_e32 v8, vcc, s3, v8
	v_addc_co_u32_e32 v9, vcc, v9, v6, vcc
	global_store_dword v[8:9], v1, off
	v_and_or_b32 v1, v11, s6, v10
	v_cmp_ne_u32_e32 vcc, 0, v1
	v_cndmask_b32_e64 v1, 0, 1, vcc
	v_lshrrev_b32_e32 v6, 8, v11
	v_bfe_u32 v10, v11, 20, 11
	v_and_or_b32 v1, v6, s7, v1
	v_sub_u32_e32 v13, 0x3f1, v10
	v_or_b32_e32 v6, 0x1000, v1
	v_med3_i32 v13, v13, 0, 13
	v_lshrrev_b32_e32 v14, v13, v6
	v_mul_f16_sdwa v7, v48, v7 dst_sel:DWORD dst_unused:UNUSED_PAD src0_sel:WORD_1 src1_sel:DWORD
	v_lshlrev_b32_e32 v13, v13, v14
	v_fma_f16 v7, v48, v12, -v7
	v_cmp_ne_u32_e32 vcc, v13, v6
	v_cvt_f32_f16_e32 v7, v7
	v_cndmask_b32_e64 v6, 0, 1, vcc
	v_add_u32_e32 v10, 0xfffffc10, v10
	v_or_b32_e32 v6, v14, v6
	v_lshl_or_b32 v13, v10, 12, v1
	v_cmp_gt_i32_e32 vcc, 1, v10
	v_cndmask_b32_e32 v6, v13, v6, vcc
	v_and_b32_e32 v13, 7, v6
	v_lshrrev_b32_e32 v12, 2, v6
	v_cvt_f64_f32_e32 v[6:7], v7
	v_cmp_lt_i32_e32 vcc, 5, v13
	v_cmp_eq_u32_e64 s[0:1], 3, v13
	s_or_b64 vcc, s[0:1], vcc
	v_mul_f64 v[6:7], v[6:7], s[4:5]
	v_addc_co_u32_e32 v12, vcc, 0, v12, vcc
	v_cmp_gt_i32_e32 vcc, 31, v10
	v_cndmask_b32_e32 v12, v2, v12, vcc
	v_cmp_ne_u32_e32 vcc, 0, v1
	v_cndmask_b32_e64 v1, 0, 1, vcc
	v_lshl_or_b32 v1, v1, 9, v2
	v_cmp_eq_u32_e32 vcc, s10, v10
	v_and_or_b32 v6, v7, s6, v6
	v_cndmask_b32_e32 v1, v12, v1, vcc
	v_lshrrev_b32_e32 v10, 16, v11
	v_cmp_ne_u32_e32 vcc, 0, v6
	v_and_or_b32 v1, v10, s11, v1
	v_cndmask_b32_e64 v6, 0, 1, vcc
	v_lshrrev_b32_e32 v10, 8, v7
	v_bfe_u32 v11, v7, 20, 11
	v_and_or_b32 v6, v10, s7, v6
	v_sub_u32_e32 v12, 0x3f1, v11
	v_or_b32_e32 v10, 0x1000, v6
	v_med3_i32 v12, v12, 0, 13
	v_lshrrev_b32_e32 v13, v12, v10
	v_lshlrev_b32_e32 v12, v12, v13
	v_cmp_ne_u32_e32 vcc, v12, v10
	v_cndmask_b32_e64 v10, 0, 1, vcc
	v_add_u32_e32 v11, 0xfffffc10, v11
	v_or_b32_e32 v10, v13, v10
	v_lshl_or_b32 v12, v11, 12, v6
	v_cmp_gt_i32_e32 vcc, 1, v11
	v_cndmask_b32_e32 v10, v12, v10, vcc
	v_and_b32_e32 v12, 7, v10
	v_cmp_lt_i32_e32 vcc, 5, v12
	v_cmp_eq_u32_e64 s[0:1], 3, v12
	v_lshrrev_b32_e32 v10, 2, v10
	s_or_b64 vcc, s[0:1], vcc
	v_addc_co_u32_e32 v10, vcc, 0, v10, vcc
	v_cmp_gt_i32_e32 vcc, 31, v11
	v_cndmask_b32_e32 v10, v2, v10, vcc
	v_cmp_ne_u32_e32 vcc, 0, v6
	v_cndmask_b32_e64 v6, 0, 1, vcc
	v_lshl_or_b32 v12, v6, 9, v2
	ds_read2_b32 v[5:6], v5 offset0:26 offset1:201
	v_cmp_eq_u32_e32 vcc, s10, v11
	v_cndmask_b32_e32 v10, v10, v12, vcc
	v_lshrrev_b32_e32 v7, 16, v7
	v_and_or_b32 v7, v7, s11, v10
	s_waitcnt lgkmcnt(0)
	v_lshrrev_b32_e32 v12, 16, v5
	v_mul_f16_sdwa v10, v47, v12 dst_sel:DWORD dst_unused:UNUSED_PAD src0_sel:WORD_1 src1_sel:DWORD
	v_fma_f16 v10, v47, v5, v10
	v_cvt_f32_f16_e32 v10, v10
	s_mul_hi_u32 s1, s8, 0xfffff510
	s_mul_i32 s0, s9, 0xfffff510
	s_sub_i32 s9, s1, s8
	v_cvt_f64_f32_e32 v[10:11], v10
	v_and_b32_e32 v1, 0xffff, v1
	s_add_i32 s9, s9, s0
	s_mulk_i32 s8, 0xf510
	v_mul_f64 v[10:11], v[10:11], s[4:5]
	v_lshl_or_b32 v1, v7, 16, v1
	v_mov_b32_e32 v13, s9
	v_add_co_u32_e32 v7, vcc, s8, v8
	v_addc_co_u32_e32 v8, vcc, v9, v13, vcc
	global_store_dword v[7:8], v1, off
	v_and_or_b32 v1, v11, s6, v10
	v_cmp_ne_u32_e32 vcc, 0, v1
	v_cndmask_b32_e64 v1, 0, 1, vcc
	v_lshrrev_b32_e32 v9, 8, v11
	v_bfe_u32 v10, v11, 20, 11
	v_and_or_b32 v1, v9, s7, v1
	v_sub_u32_e32 v13, 0x3f1, v10
	v_or_b32_e32 v9, 0x1000, v1
	v_med3_i32 v13, v13, 0, 13
	v_lshrrev_b32_e32 v14, v13, v9
	v_lshlrev_b32_e32 v13, v13, v14
	v_mul_f16_sdwa v5, v47, v5 dst_sel:DWORD dst_unused:UNUSED_PAD src0_sel:WORD_1 src1_sel:DWORD
	v_cmp_ne_u32_e32 vcc, v13, v9
	v_fma_f16 v5, v47, v12, -v5
	v_cndmask_b32_e64 v9, 0, 1, vcc
	v_add_u32_e32 v13, 0xfffffc10, v10
	v_cvt_f32_f16_e32 v5, v5
	v_or_b32_e32 v9, v14, v9
	v_lshl_or_b32 v10, v13, 12, v1
	v_cmp_gt_i32_e32 vcc, 1, v13
	v_cndmask_b32_e32 v9, v10, v9, vcc
	v_and_b32_e32 v10, 7, v9
	v_cmp_lt_i32_e32 vcc, 5, v10
	v_cmp_eq_u32_e64 s[0:1], 3, v10
	v_lshrrev_b32_e32 v12, 2, v9
	v_cvt_f64_f32_e32 v[9:10], v5
	s_or_b64 vcc, s[0:1], vcc
	v_addc_co_u32_e32 v5, vcc, 0, v12, vcc
	v_mul_f64 v[9:10], v[9:10], s[4:5]
	v_cmp_gt_i32_e32 vcc, 31, v13
	v_cndmask_b32_e32 v5, v2, v5, vcc
	v_cmp_ne_u32_e32 vcc, 0, v1
	v_cndmask_b32_e64 v1, 0, 1, vcc
	v_lshl_or_b32 v1, v1, 9, v2
	v_cmp_eq_u32_e32 vcc, s10, v13
	v_cndmask_b32_e32 v1, v5, v1, vcc
	v_lshrrev_b32_e32 v5, 16, v11
	v_and_or_b32 v1, v5, s11, v1
	v_and_or_b32 v5, v10, s6, v9
	v_cmp_ne_u32_e32 vcc, 0, v5
	v_cndmask_b32_e64 v5, 0, 1, vcc
	v_lshrrev_b32_e32 v9, 8, v10
	v_bfe_u32 v11, v10, 20, 11
	v_and_or_b32 v9, v9, s7, v5
	v_sub_u32_e32 v12, 0x3f1, v11
	v_or_b32_e32 v5, 0x1000, v9
	v_med3_i32 v12, v12, 0, 13
	v_lshrrev_b32_e32 v13, v12, v5
	v_lshlrev_b32_e32 v12, v12, v13
	v_cmp_ne_u32_e32 vcc, v12, v5
	v_cndmask_b32_e64 v5, 0, 1, vcc
	v_add_u32_e32 v11, 0xfffffc10, v11
	v_or_b32_e32 v5, v13, v5
	v_lshl_or_b32 v12, v11, 12, v9
	v_cmp_gt_i32_e32 vcc, 1, v11
	v_cndmask_b32_e32 v5, v12, v5, vcc
	v_and_b32_e32 v12, 7, v5
	v_cmp_lt_i32_e32 vcc, 5, v12
	v_cmp_eq_u32_e64 s[0:1], 3, v12
	v_lshrrev_b32_e32 v5, 2, v5
	s_or_b64 vcc, s[0:1], vcc
	v_addc_co_u32_e32 v12, vcc, 0, v5, vcc
	ds_read2_b32 v[4:5], v4 offset0:30 offset1:205
	v_cmp_gt_i32_e32 vcc, 31, v11
	v_cndmask_b32_e32 v12, v2, v12, vcc
	v_cmp_ne_u32_e32 vcc, 0, v9
	v_cndmask_b32_e64 v9, 0, 1, vcc
	s_waitcnt lgkmcnt(0)
	v_lshrrev_b32_e32 v13, 16, v4
	v_mul_f16_sdwa v14, v46, v13 dst_sel:DWORD dst_unused:UNUSED_PAD src0_sel:WORD_1 src1_sel:DWORD
	v_fma_f16 v14, v46, v4, v14
	v_cvt_f32_f16_e32 v14, v14
	v_lshl_or_b32 v9, v9, 9, v2
	v_cmp_eq_u32_e32 vcc, s10, v11
	v_cndmask_b32_e32 v9, v12, v9, vcc
	v_cvt_f64_f32_e32 v[11:12], v14
	v_lshrrev_b32_e32 v10, 16, v10
	v_and_or_b32 v14, v10, s11, v9
	v_and_b32_e32 v1, 0xffff, v1
	v_mul_f64 v[9:10], v[11:12], s[4:5]
	v_mov_b32_e32 v11, s2
	v_add_co_u32_e32 v7, vcc, s3, v7
	v_lshl_or_b32 v1, v14, 16, v1
	v_addc_co_u32_e32 v8, vcc, v8, v11, vcc
	global_store_dword v[7:8], v1, off
	v_and_or_b32 v1, v10, s6, v9
	v_cmp_ne_u32_e32 vcc, 0, v1
	v_cndmask_b32_e64 v1, 0, 1, vcc
	v_lshrrev_b32_e32 v9, 8, v10
	v_bfe_u32 v11, v10, 20, 11
	v_and_or_b32 v1, v9, s7, v1
	v_sub_u32_e32 v12, 0x3f1, v11
	v_or_b32_e32 v9, 0x1000, v1
	v_med3_i32 v12, v12, 0, 13
	v_lshrrev_b32_e32 v14, v12, v9
	v_lshlrev_b32_e32 v12, v12, v14
	v_cmp_ne_u32_e32 vcc, v12, v9
	v_mul_f16_sdwa v4, v46, v4 dst_sel:DWORD dst_unused:UNUSED_PAD src0_sel:WORD_1 src1_sel:DWORD
	v_cndmask_b32_e64 v9, 0, 1, vcc
	v_fma_f16 v4, v46, v13, -v4
	v_or_b32_e32 v9, v14, v9
	v_add_u32_e32 v14, 0xfffffc10, v11
	v_cvt_f32_f16_e32 v4, v4
	v_lshl_or_b32 v11, v14, 12, v1
	v_cmp_gt_i32_e32 vcc, 1, v14
	v_cndmask_b32_e32 v9, v11, v9, vcc
	v_and_b32_e32 v11, 7, v9
	v_cmp_lt_i32_e32 vcc, 5, v11
	v_cmp_eq_u32_e64 s[0:1], 3, v11
	v_cvt_f64_f32_e32 v[11:12], v4
	v_lshrrev_b32_e32 v9, 2, v9
	s_or_b64 vcc, s[0:1], vcc
	v_addc_co_u32_e32 v4, vcc, 0, v9, vcc
	v_mul_f64 v[11:12], v[11:12], s[4:5]
	v_cmp_gt_i32_e32 vcc, 31, v14
	v_cndmask_b32_e32 v4, v2, v4, vcc
	v_cmp_ne_u32_e32 vcc, 0, v1
	v_cndmask_b32_e64 v1, 0, 1, vcc
	v_lshl_or_b32 v1, v1, 9, v2
	v_cmp_eq_u32_e32 vcc, s10, v14
	v_cndmask_b32_e32 v1, v4, v1, vcc
	v_lshrrev_b32_e32 v4, 16, v10
	v_and_or_b32 v1, v4, s11, v1
	v_and_or_b32 v4, v12, s6, v11
	v_cmp_ne_u32_e32 vcc, 0, v4
	v_cndmask_b32_e64 v4, 0, 1, vcc
	v_lshrrev_b32_e32 v9, 8, v12
	v_bfe_u32 v10, v12, 20, 11
	v_and_or_b32 v4, v9, s7, v4
	v_sub_u32_e32 v11, 0x3f1, v10
	v_or_b32_e32 v9, 0x1000, v4
	v_med3_i32 v11, v11, 0, 13
	v_lshrrev_b32_e32 v13, v11, v9
	v_lshlrev_b32_e32 v11, v11, v13
	v_cmp_ne_u32_e32 vcc, v11, v9
	v_cndmask_b32_e64 v9, 0, 1, vcc
	v_add_u32_e32 v10, 0xfffffc10, v10
	v_or_b32_e32 v9, v13, v9
	v_lshl_or_b32 v11, v10, 12, v4
	v_cmp_gt_i32_e32 vcc, 1, v10
	v_cndmask_b32_e32 v9, v11, v9, vcc
	v_and_b32_e32 v11, 7, v9
	v_cmp_lt_i32_e32 vcc, 5, v11
	v_cmp_eq_u32_e64 s[0:1], 3, v11
	v_lshrrev_b32_e32 v11, 16, v6
	v_lshrrev_b32_e32 v9, 2, v9
	s_or_b64 vcc, s[0:1], vcc
	v_mul_f16_sdwa v13, v45, v11 dst_sel:DWORD dst_unused:UNUSED_PAD src0_sel:WORD_1 src1_sel:DWORD
	v_addc_co_u32_e32 v9, vcc, 0, v9, vcc
	v_fma_f16 v13, v45, v6, v13
	v_cmp_gt_i32_e32 vcc, 31, v10
	v_cvt_f32_f16_e32 v13, v13
	v_cndmask_b32_e32 v9, v2, v9, vcc
	v_cmp_ne_u32_e32 vcc, 0, v4
	v_cndmask_b32_e64 v4, 0, 1, vcc
	v_lshl_or_b32 v4, v4, 9, v2
	v_cmp_eq_u32_e32 vcc, s10, v10
	v_cndmask_b32_e32 v4, v9, v4, vcc
	v_cvt_f64_f32_e32 v[9:10], v13
	v_lshrrev_b32_e32 v12, 16, v12
	v_and_or_b32 v4, v12, s11, v4
	v_and_b32_e32 v1, 0xffff, v1
	v_mul_f64 v[9:10], v[9:10], s[4:5]
	v_lshl_or_b32 v1, v4, 16, v1
	v_mov_b32_e32 v4, s9
	v_add_co_u32_e32 v7, vcc, s8, v7
	v_addc_co_u32_e32 v8, vcc, v8, v4, vcc
	global_store_dword v[7:8], v1, off
	v_and_or_b32 v1, v10, s6, v9
	v_cmp_ne_u32_e32 vcc, 0, v1
	v_cndmask_b32_e64 v1, 0, 1, vcc
	v_lshrrev_b32_e32 v4, 8, v10
	v_bfe_u32 v9, v10, 20, 11
	v_and_or_b32 v1, v4, s7, v1
	v_sub_u32_e32 v12, 0x3f1, v9
	v_or_b32_e32 v4, 0x1000, v1
	v_med3_i32 v12, v12, 0, 13
	v_lshrrev_b32_e32 v13, v12, v4
	v_lshlrev_b32_e32 v12, v12, v13
	v_mul_f16_sdwa v6, v45, v6 dst_sel:DWORD dst_unused:UNUSED_PAD src0_sel:WORD_1 src1_sel:DWORD
	v_cmp_ne_u32_e32 vcc, v12, v4
	v_fma_f16 v6, v45, v11, -v6
	v_cndmask_b32_e64 v4, 0, 1, vcc
	v_add_u32_e32 v9, 0xfffffc10, v9
	v_cvt_f32_f16_e32 v6, v6
	v_or_b32_e32 v4, v13, v4
	v_lshl_or_b32 v12, v9, 12, v1
	v_cmp_gt_i32_e32 vcc, 1, v9
	v_cndmask_b32_e32 v4, v12, v4, vcc
	v_and_b32_e32 v12, 7, v4
	v_cmp_lt_i32_e32 vcc, 5, v12
	v_cmp_eq_u32_e64 s[0:1], 3, v12
	v_cvt_f64_f32_e32 v[11:12], v6
	v_lshrrev_b32_e32 v4, 2, v4
	s_or_b64 vcc, s[0:1], vcc
	v_addc_co_u32_e32 v4, vcc, 0, v4, vcc
	v_mul_f64 v[11:12], v[11:12], s[4:5]
	v_cmp_gt_i32_e32 vcc, 31, v9
	v_cndmask_b32_e32 v4, v2, v4, vcc
	v_cmp_ne_u32_e32 vcc, 0, v1
	v_cndmask_b32_e64 v1, 0, 1, vcc
	v_lshl_or_b32 v1, v1, 9, v2
	v_cmp_eq_u32_e32 vcc, s10, v9
	v_cndmask_b32_e32 v1, v4, v1, vcc
	v_lshrrev_b32_e32 v4, 16, v10
	v_and_or_b32 v1, v4, s11, v1
	v_and_or_b32 v4, v12, s6, v11
	v_cmp_ne_u32_e32 vcc, 0, v4
	v_cndmask_b32_e64 v4, 0, 1, vcc
	v_lshrrev_b32_e32 v6, 8, v12
	v_bfe_u32 v9, v12, 20, 11
	v_and_or_b32 v4, v6, s7, v4
	v_sub_u32_e32 v10, 0x3f1, v9
	v_or_b32_e32 v6, 0x1000, v4
	v_med3_i32 v10, v10, 0, 13
	v_lshrrev_b32_e32 v11, v10, v6
	v_lshlrev_b32_e32 v10, v10, v11
	v_cmp_ne_u32_e32 vcc, v10, v6
	v_cndmask_b32_e64 v6, 0, 1, vcc
	v_add_u32_e32 v9, 0xfffffc10, v9
	v_or_b32_e32 v6, v11, v6
	v_lshl_or_b32 v10, v9, 12, v4
	v_cmp_gt_i32_e32 vcc, 1, v9
	v_cndmask_b32_e32 v6, v10, v6, vcc
	v_and_b32_e32 v10, 7, v6
	v_lshrrev_b32_e32 v11, 16, v5
	v_cmp_lt_i32_e32 vcc, 5, v10
	v_cmp_eq_u32_e64 s[0:1], 3, v10
	v_mul_f16_sdwa v10, v44, v11 dst_sel:DWORD dst_unused:UNUSED_PAD src0_sel:WORD_1 src1_sel:DWORD
	v_fma_f16 v10, v44, v5, v10
	v_lshrrev_b32_e32 v6, 2, v6
	s_or_b64 vcc, s[0:1], vcc
	v_cvt_f32_f16_e32 v10, v10
	v_addc_co_u32_e32 v6, vcc, 0, v6, vcc
	v_cmp_gt_i32_e32 vcc, 31, v9
	v_cndmask_b32_e32 v6, v2, v6, vcc
	v_cmp_ne_u32_e32 vcc, 0, v4
	v_cndmask_b32_e64 v4, 0, 1, vcc
	v_cmp_eq_u32_e32 vcc, s10, v9
	v_cvt_f64_f32_e32 v[9:10], v10
	v_lshl_or_b32 v4, v4, 9, v2
	v_cndmask_b32_e32 v4, v6, v4, vcc
	v_lshrrev_b32_e32 v6, 16, v12
	v_mul_f64 v[9:10], v[9:10], s[4:5]
	v_and_or_b32 v4, v6, s11, v4
	v_and_b32_e32 v1, 0xffff, v1
	v_lshl_or_b32 v1, v4, 16, v1
	v_mov_b32_e32 v4, s2
	v_add_co_u32_e32 v6, vcc, s3, v7
	v_addc_co_u32_e32 v7, vcc, v8, v4, vcc
	global_store_dword v[6:7], v1, off
	v_and_or_b32 v1, v10, s6, v9
	v_cmp_ne_u32_e32 vcc, 0, v1
	v_cndmask_b32_e64 v1, 0, 1, vcc
	v_lshrrev_b32_e32 v4, 8, v10
	v_bfe_u32 v8, v10, 20, 11
	v_and_or_b32 v1, v4, s7, v1
	v_sub_u32_e32 v9, 0x3f1, v8
	v_or_b32_e32 v4, 0x1000, v1
	v_med3_i32 v9, v9, 0, 13
	v_lshrrev_b32_e32 v12, v9, v4
	v_lshlrev_b32_e32 v9, v9, v12
	v_mul_f16_sdwa v5, v44, v5 dst_sel:DWORD dst_unused:UNUSED_PAD src0_sel:WORD_1 src1_sel:DWORD
	v_cmp_ne_u32_e32 vcc, v9, v4
	v_fma_f16 v5, v44, v11, -v5
	v_cndmask_b32_e64 v4, 0, 1, vcc
	v_add_u32_e32 v8, 0xfffffc10, v8
	v_cvt_f32_f16_e32 v5, v5
	v_or_b32_e32 v4, v12, v4
	v_lshl_or_b32 v9, v8, 12, v1
	v_cmp_gt_i32_e32 vcc, 1, v8
	v_cndmask_b32_e32 v4, v9, v4, vcc
	v_and_b32_e32 v9, 7, v4
	v_cmp_lt_i32_e32 vcc, 5, v9
	v_cmp_eq_u32_e64 s[0:1], 3, v9
	v_lshrrev_b32_e32 v9, 2, v4
	v_cvt_f64_f32_e32 v[4:5], v5
	s_or_b64 vcc, s[0:1], vcc
	v_addc_co_u32_e32 v9, vcc, 0, v9, vcc
	v_mul_f64 v[4:5], v[4:5], s[4:5]
	v_cmp_gt_i32_e32 vcc, 31, v8
	v_cndmask_b32_e32 v9, v2, v9, vcc
	v_cmp_ne_u32_e32 vcc, 0, v1
	v_cndmask_b32_e64 v1, 0, 1, vcc
	v_lshl_or_b32 v1, v1, 9, v2
	v_cmp_eq_u32_e32 vcc, s10, v8
	v_cndmask_b32_e32 v1, v9, v1, vcc
	v_and_or_b32 v4, v5, s6, v4
	v_lshrrev_b32_e32 v8, 16, v10
	v_cmp_ne_u32_e32 vcc, 0, v4
	v_and_or_b32 v1, v8, s11, v1
	v_cndmask_b32_e64 v4, 0, 1, vcc
	v_lshrrev_b32_e32 v8, 8, v5
	v_bfe_u32 v9, v5, 20, 11
	v_and_or_b32 v8, v8, s7, v4
	v_sub_u32_e32 v10, 0x3f1, v9
	v_or_b32_e32 v4, 0x1000, v8
	v_med3_i32 v10, v10, 0, 13
	v_lshrrev_b32_e32 v11, v10, v4
	v_lshlrev_b32_e32 v10, v10, v11
	v_cmp_ne_u32_e32 vcc, v10, v4
	v_cndmask_b32_e64 v4, 0, 1, vcc
	v_add_u32_e32 v9, 0xfffffc10, v9
	v_or_b32_e32 v4, v11, v4
	v_lshl_or_b32 v10, v9, 12, v8
	v_cmp_gt_i32_e32 vcc, 1, v9
	v_cndmask_b32_e32 v4, v10, v4, vcc
	v_and_b32_e32 v10, 7, v4
	v_cmp_lt_i32_e32 vcc, 5, v10
	v_cmp_eq_u32_e64 s[0:1], 3, v10
	v_lshrrev_b32_e32 v4, 2, v4
	s_or_b64 vcc, s[0:1], vcc
	v_addc_co_u32_e32 v10, vcc, 0, v4, vcc
	ds_read2_b32 v[3:4], v3 offset0:56 offset1:231
	v_cmp_gt_i32_e32 vcc, 31, v9
	v_cndmask_b32_e32 v10, v2, v10, vcc
	v_cmp_ne_u32_e32 vcc, 0, v8
	v_cndmask_b32_e64 v8, 0, 1, vcc
	s_waitcnt lgkmcnt(0)
	v_lshrrev_b32_e32 v11, 16, v3
	v_mul_f16_sdwa v12, v43, v11 dst_sel:DWORD dst_unused:UNUSED_PAD src0_sel:WORD_1 src1_sel:DWORD
	v_fma_f16 v12, v43, v3, v12
	v_cvt_f32_f16_e32 v12, v12
	v_lshl_or_b32 v8, v8, 9, v2
	v_cmp_eq_u32_e32 vcc, s10, v9
	v_cndmask_b32_e32 v10, v10, v8, vcc
	v_cvt_f64_f32_e32 v[8:9], v12
	v_lshrrev_b32_e32 v5, 16, v5
	v_and_or_b32 v5, v5, s11, v10
	v_and_b32_e32 v1, 0xffff, v1
	v_mul_f64 v[8:9], v[8:9], s[4:5]
	v_lshl_or_b32 v1, v5, 16, v1
	v_mov_b32_e32 v10, s9
	v_add_co_u32_e32 v5, vcc, s8, v6
	v_addc_co_u32_e32 v6, vcc, v7, v10, vcc
	global_store_dword v[5:6], v1, off
	v_and_or_b32 v1, v9, s6, v8
	v_cmp_ne_u32_e32 vcc, 0, v1
	v_cndmask_b32_e64 v1, 0, 1, vcc
	v_lshrrev_b32_e32 v7, 8, v9
	v_bfe_u32 v8, v9, 20, 11
	v_and_or_b32 v1, v7, s7, v1
	v_sub_u32_e32 v10, 0x3f1, v8
	v_or_b32_e32 v7, 0x1000, v1
	v_med3_i32 v10, v10, 0, 13
	v_lshrrev_b32_e32 v12, v10, v7
	v_lshlrev_b32_e32 v10, v10, v12
	v_mul_f16_sdwa v3, v43, v3 dst_sel:DWORD dst_unused:UNUSED_PAD src0_sel:WORD_1 src1_sel:DWORD
	v_cmp_ne_u32_e32 vcc, v10, v7
	v_fma_f16 v3, v43, v11, -v3
	v_cndmask_b32_e64 v7, 0, 1, vcc
	v_add_u32_e32 v10, 0xfffffc10, v8
	v_cvt_f32_f16_e32 v3, v3
	v_or_b32_e32 v7, v12, v7
	v_lshl_or_b32 v8, v10, 12, v1
	v_cmp_gt_i32_e32 vcc, 1, v10
	v_cndmask_b32_e32 v7, v8, v7, vcc
	v_and_b32_e32 v8, 7, v7
	v_cmp_lt_i32_e32 vcc, 5, v8
	v_cmp_eq_u32_e64 s[0:1], 3, v8
	v_lshrrev_b32_e32 v11, 2, v7
	v_cvt_f64_f32_e32 v[7:8], v3
	s_or_b64 vcc, s[0:1], vcc
	v_addc_co_u32_e32 v3, vcc, 0, v11, vcc
	v_mul_f64 v[7:8], v[7:8], s[4:5]
	v_cmp_gt_i32_e32 vcc, 31, v10
	v_cndmask_b32_e32 v3, v2, v3, vcc
	v_cmp_ne_u32_e32 vcc, 0, v1
	v_cndmask_b32_e64 v1, 0, 1, vcc
	v_lshl_or_b32 v1, v1, 9, v2
	v_cmp_eq_u32_e32 vcc, s10, v10
	v_cndmask_b32_e32 v1, v3, v1, vcc
	v_lshrrev_b32_e32 v3, 16, v9
	v_and_or_b32 v1, v3, s11, v1
	v_and_or_b32 v3, v8, s6, v7
	v_cmp_ne_u32_e32 vcc, 0, v3
	v_cndmask_b32_e64 v3, 0, 1, vcc
	v_lshrrev_b32_e32 v7, 8, v8
	v_bfe_u32 v9, v8, 20, 11
	v_and_or_b32 v3, v7, s7, v3
	v_sub_u32_e32 v10, 0x3f1, v9
	v_or_b32_e32 v7, 0x1000, v3
	v_med3_i32 v10, v10, 0, 13
	v_lshrrev_b32_e32 v11, v10, v7
	v_lshlrev_b32_e32 v10, v10, v11
	v_cmp_ne_u32_e32 vcc, v10, v7
	v_cndmask_b32_e64 v7, 0, 1, vcc
	v_add_u32_e32 v9, 0xfffffc10, v9
	v_or_b32_e32 v7, v11, v7
	v_lshl_or_b32 v10, v9, 12, v3
	v_cmp_gt_i32_e32 vcc, 1, v9
	v_cndmask_b32_e32 v7, v10, v7, vcc
	v_and_b32_e32 v10, 7, v7
	v_lshrrev_b32_e32 v11, 16, v0
	v_cmp_lt_i32_e32 vcc, 5, v10
	v_cmp_eq_u32_e64 s[0:1], 3, v10
	v_mul_f16_sdwa v10, v42, v11 dst_sel:DWORD dst_unused:UNUSED_PAD src0_sel:WORD_1 src1_sel:DWORD
	v_fma_f16 v10, v42, v0, v10
	v_lshrrev_b32_e32 v7, 2, v7
	s_or_b64 vcc, s[0:1], vcc
	v_cvt_f32_f16_e32 v10, v10
	v_addc_co_u32_e32 v7, vcc, 0, v7, vcc
	v_cmp_gt_i32_e32 vcc, 31, v9
	v_cndmask_b32_e32 v7, v2, v7, vcc
	v_cmp_ne_u32_e32 vcc, 0, v3
	v_cndmask_b32_e64 v3, 0, 1, vcc
	v_cmp_eq_u32_e32 vcc, s10, v9
	v_cvt_f64_f32_e32 v[9:10], v10
	v_lshl_or_b32 v3, v3, 9, v2
	v_cndmask_b32_e32 v3, v7, v3, vcc
	v_lshrrev_b32_e32 v7, 16, v8
	v_and_or_b32 v3, v7, s11, v3
	v_mul_f64 v[7:8], v[9:10], s[4:5]
	v_and_b32_e32 v1, 0xffff, v1
	v_lshl_or_b32 v1, v3, 16, v1
	v_mov_b32_e32 v3, s2
	v_add_co_u32_e32 v5, vcc, s3, v5
	v_addc_co_u32_e32 v6, vcc, v6, v3, vcc
	global_store_dword v[5:6], v1, off
	v_and_or_b32 v1, v8, s6, v7
	v_cmp_ne_u32_e32 vcc, 0, v1
	v_cndmask_b32_e64 v1, 0, 1, vcc
	v_lshrrev_b32_e32 v3, 8, v8
	v_bfe_u32 v7, v8, 20, 11
	v_and_or_b32 v3, v3, s7, v1
	v_sub_u32_e32 v9, 0x3f1, v7
	v_or_b32_e32 v1, 0x1000, v3
	v_med3_i32 v9, v9, 0, 13
	v_lshrrev_b32_e32 v10, v9, v1
	v_lshlrev_b32_e32 v9, v9, v10
	v_mul_f16_sdwa v0, v42, v0 dst_sel:DWORD dst_unused:UNUSED_PAD src0_sel:WORD_1 src1_sel:DWORD
	v_cmp_ne_u32_e32 vcc, v9, v1
	v_fma_f16 v0, v42, v11, -v0
	v_cndmask_b32_e64 v1, 0, 1, vcc
	v_add_u32_e32 v7, 0xfffffc10, v7
	v_cvt_f32_f16_e32 v0, v0
	v_or_b32_e32 v1, v10, v1
	v_lshl_or_b32 v9, v7, 12, v3
	v_cmp_gt_i32_e32 vcc, 1, v7
	v_cndmask_b32_e32 v1, v9, v1, vcc
	v_and_b32_e32 v9, 7, v1
	v_cmp_lt_i32_e32 vcc, 5, v9
	v_cmp_eq_u32_e64 s[0:1], 3, v9
	v_lshrrev_b32_e32 v9, 2, v1
	v_cvt_f64_f32_e32 v[0:1], v0
	s_or_b64 vcc, s[0:1], vcc
	v_addc_co_u32_e32 v9, vcc, 0, v9, vcc
	v_mul_f64 v[0:1], v[0:1], s[4:5]
	v_cmp_gt_i32_e32 vcc, 31, v7
	v_cndmask_b32_e32 v9, v2, v9, vcc
	v_cmp_ne_u32_e32 vcc, 0, v3
	v_cndmask_b32_e64 v3, 0, 1, vcc
	v_lshl_or_b32 v3, v3, 9, v2
	v_cmp_eq_u32_e32 vcc, s10, v7
	v_cndmask_b32_e32 v3, v9, v3, vcc
	v_and_or_b32 v0, v1, s6, v0
	v_lshrrev_b32_e32 v7, 16, v8
	v_cmp_ne_u32_e32 vcc, 0, v0
	v_and_or_b32 v3, v7, s11, v3
	v_cndmask_b32_e64 v0, 0, 1, vcc
	v_lshrrev_b32_e32 v7, 8, v1
	v_bfe_u32 v8, v1, 20, 11
	v_and_or_b32 v0, v7, s7, v0
	v_sub_u32_e32 v9, 0x3f1, v8
	v_or_b32_e32 v7, 0x1000, v0
	v_med3_i32 v9, v9, 0, 13
	v_lshrrev_b32_e32 v10, v9, v7
	v_lshlrev_b32_e32 v9, v9, v10
	v_cmp_ne_u32_e32 vcc, v9, v7
	v_cndmask_b32_e64 v7, 0, 1, vcc
	v_add_u32_e32 v8, 0xfffffc10, v8
	v_or_b32_e32 v7, v10, v7
	v_lshl_or_b32 v9, v8, 12, v0
	v_cmp_gt_i32_e32 vcc, 1, v8
	v_cndmask_b32_e32 v7, v9, v7, vcc
	v_and_b32_e32 v9, 7, v7
	v_cmp_lt_i32_e32 vcc, 5, v9
	v_cmp_eq_u32_e64 s[0:1], 3, v9
	v_lshrrev_b32_e32 v9, 16, v4
	v_lshrrev_b32_e32 v7, 2, v7
	s_or_b64 vcc, s[0:1], vcc
	v_mul_f16_sdwa v10, v41, v9 dst_sel:DWORD dst_unused:UNUSED_PAD src0_sel:WORD_1 src1_sel:DWORD
	v_addc_co_u32_e32 v7, vcc, 0, v7, vcc
	v_fma_f16 v10, v41, v4, v10
	v_cmp_gt_i32_e32 vcc, 31, v8
	v_cvt_f32_f16_e32 v10, v10
	v_cndmask_b32_e32 v7, v2, v7, vcc
	v_cmp_ne_u32_e32 vcc, 0, v0
	v_cndmask_b32_e64 v0, 0, 1, vcc
	v_lshl_or_b32 v0, v0, 9, v2
	v_cmp_eq_u32_e32 vcc, s10, v8
	v_cndmask_b32_e32 v0, v7, v0, vcc
	v_cvt_f64_f32_e32 v[7:8], v10
	v_lshrrev_b32_e32 v1, 16, v1
	v_and_or_b32 v10, v1, s11, v0
	v_add_co_u32_e32 v5, vcc, s8, v5
	v_mul_f64 v[0:1], v[7:8], s[4:5]
	v_mov_b32_e32 v7, s9
	v_and_b32_e32 v3, 0xffff, v3
	v_addc_co_u32_e32 v6, vcc, v6, v7, vcc
	v_lshl_or_b32 v3, v10, 16, v3
	global_store_dword v[5:6], v3, off
	v_mul_f16_sdwa v4, v41, v4 dst_sel:DWORD dst_unused:UNUSED_PAD src0_sel:WORD_1 src1_sel:DWORD
	v_and_or_b32 v0, v1, s6, v0
	v_cmp_ne_u32_e32 vcc, 0, v0
	v_cndmask_b32_e64 v0, 0, 1, vcc
	v_lshrrev_b32_e32 v3, 8, v1
	v_bfe_u32 v7, v1, 20, 11
	v_and_or_b32 v0, v3, s7, v0
	v_sub_u32_e32 v8, 0x3f1, v7
	v_or_b32_e32 v3, 0x1000, v0
	v_med3_i32 v8, v8, 0, 13
	v_lshrrev_b32_e32 v10, v8, v3
	v_lshlrev_b32_e32 v8, v8, v10
	v_cmp_ne_u32_e32 vcc, v8, v3
	v_fma_f16 v4, v41, v9, -v4
	v_cndmask_b32_e64 v3, 0, 1, vcc
	v_add_u32_e32 v7, 0xfffffc10, v7
	v_cvt_f32_f16_e32 v4, v4
	v_or_b32_e32 v3, v10, v3
	v_lshl_or_b32 v8, v7, 12, v0
	v_cmp_gt_i32_e32 vcc, 1, v7
	v_cndmask_b32_e32 v3, v8, v3, vcc
	v_and_b32_e32 v8, 7, v3
	v_cmp_lt_i32_e32 vcc, 5, v8
	v_cmp_eq_u32_e64 s[0:1], 3, v8
	v_lshrrev_b32_e32 v8, 2, v3
	v_cvt_f64_f32_e32 v[3:4], v4
	s_or_b64 vcc, s[0:1], vcc
	v_addc_co_u32_e32 v8, vcc, 0, v8, vcc
	v_mul_f64 v[3:4], v[3:4], s[4:5]
	v_cmp_gt_i32_e32 vcc, 31, v7
	v_cndmask_b32_e32 v8, v2, v8, vcc
	v_cmp_ne_u32_e32 vcc, 0, v0
	v_cndmask_b32_e64 v0, 0, 1, vcc
	v_lshl_or_b32 v0, v0, 9, v2
	v_cmp_eq_u32_e32 vcc, s10, v7
	v_cndmask_b32_e32 v0, v8, v0, vcc
	v_lshrrev_b32_e32 v1, 16, v1
	v_and_or_b32 v0, v1, s11, v0
	v_and_or_b32 v1, v4, s6, v3
	v_cmp_ne_u32_e32 vcc, 0, v1
	v_cndmask_b32_e64 v1, 0, 1, vcc
	v_lshrrev_b32_e32 v3, 8, v4
	v_bfe_u32 v7, v4, 20, 11
	v_and_or_b32 v1, v3, s7, v1
	v_sub_u32_e32 v8, 0x3f1, v7
	v_or_b32_e32 v3, 0x1000, v1
	v_med3_i32 v8, v8, 0, 13
	v_lshrrev_b32_e32 v9, v8, v3
	v_lshlrev_b32_e32 v8, v8, v9
	v_cmp_ne_u32_e32 vcc, v8, v3
	v_cndmask_b32_e64 v3, 0, 1, vcc
	v_add_u32_e32 v7, 0xfffffc10, v7
	v_or_b32_e32 v3, v9, v3
	v_lshl_or_b32 v8, v7, 12, v1
	v_cmp_gt_i32_e32 vcc, 1, v7
	v_cndmask_b32_e32 v3, v8, v3, vcc
	v_and_b32_e32 v8, 7, v3
	v_cmp_lt_i32_e32 vcc, 5, v8
	v_cmp_eq_u32_e64 s[0:1], 3, v8
	v_lshrrev_b32_e32 v3, 2, v3
	s_or_b64 vcc, s[0:1], vcc
	v_addc_co_u32_e32 v3, vcc, 0, v3, vcc
	v_cmp_gt_i32_e32 vcc, 31, v7
	v_cndmask_b32_e32 v3, v2, v3, vcc
	v_cmp_ne_u32_e32 vcc, 0, v1
	v_cndmask_b32_e64 v1, 0, 1, vcc
	v_lshl_or_b32 v1, v1, 9, v2
	v_cmp_eq_u32_e32 vcc, s10, v7
	v_cndmask_b32_e32 v1, v3, v1, vcc
	v_lshrrev_b32_e32 v2, 16, v4
	v_and_or_b32 v1, v2, s11, v1
	v_and_b32_e32 v0, 0xffff, v0
	v_lshl_or_b32 v2, v1, 16, v0
	v_mov_b32_e32 v1, s2
	v_add_co_u32_e32 v0, vcc, s3, v5
	v_addc_co_u32_e32 v1, vcc, v6, v1, vcc
	global_store_dword v[0:1], v2, off
.LBB0_10:
	s_endpgm
	.section	.rodata,"a",@progbits
	.p2align	6, 0x0
	.amdhsa_kernel bluestein_single_back_len1750_dim1_half_op_CI_CI
		.amdhsa_group_segment_fixed_size 7000
		.amdhsa_private_segment_fixed_size 0
		.amdhsa_kernarg_size 104
		.amdhsa_user_sgpr_count 6
		.amdhsa_user_sgpr_private_segment_buffer 1
		.amdhsa_user_sgpr_dispatch_ptr 0
		.amdhsa_user_sgpr_queue_ptr 0
		.amdhsa_user_sgpr_kernarg_segment_ptr 1
		.amdhsa_user_sgpr_dispatch_id 0
		.amdhsa_user_sgpr_flat_scratch_init 0
		.amdhsa_user_sgpr_private_segment_size 0
		.amdhsa_uses_dynamic_stack 0
		.amdhsa_system_sgpr_private_segment_wavefront_offset 0
		.amdhsa_system_sgpr_workgroup_id_x 1
		.amdhsa_system_sgpr_workgroup_id_y 0
		.amdhsa_system_sgpr_workgroup_id_z 0
		.amdhsa_system_sgpr_workgroup_info 0
		.amdhsa_system_vgpr_workitem_id 0
		.amdhsa_next_free_vgpr 111
		.amdhsa_next_free_sgpr 20
		.amdhsa_reserve_vcc 1
		.amdhsa_reserve_flat_scratch 0
		.amdhsa_float_round_mode_32 0
		.amdhsa_float_round_mode_16_64 0
		.amdhsa_float_denorm_mode_32 3
		.amdhsa_float_denorm_mode_16_64 3
		.amdhsa_dx10_clamp 1
		.amdhsa_ieee_mode 1
		.amdhsa_fp16_overflow 0
		.amdhsa_exception_fp_ieee_invalid_op 0
		.amdhsa_exception_fp_denorm_src 0
		.amdhsa_exception_fp_ieee_div_zero 0
		.amdhsa_exception_fp_ieee_overflow 0
		.amdhsa_exception_fp_ieee_underflow 0
		.amdhsa_exception_fp_ieee_inexact 0
		.amdhsa_exception_int_div_zero 0
	.end_amdhsa_kernel
	.text
.Lfunc_end0:
	.size	bluestein_single_back_len1750_dim1_half_op_CI_CI, .Lfunc_end0-bluestein_single_back_len1750_dim1_half_op_CI_CI
                                        ; -- End function
	.section	.AMDGPU.csdata,"",@progbits
; Kernel info:
; codeLenInByte = 18360
; NumSgprs: 24
; NumVgprs: 111
; ScratchSize: 0
; MemoryBound: 0
; FloatMode: 240
; IeeeMode: 1
; LDSByteSize: 7000 bytes/workgroup (compile time only)
; SGPRBlocks: 2
; VGPRBlocks: 27
; NumSGPRsForWavesPerEU: 24
; NumVGPRsForWavesPerEU: 111
; Occupancy: 2
; WaveLimiterHint : 1
; COMPUTE_PGM_RSRC2:SCRATCH_EN: 0
; COMPUTE_PGM_RSRC2:USER_SGPR: 6
; COMPUTE_PGM_RSRC2:TRAP_HANDLER: 0
; COMPUTE_PGM_RSRC2:TGID_X_EN: 1
; COMPUTE_PGM_RSRC2:TGID_Y_EN: 0
; COMPUTE_PGM_RSRC2:TGID_Z_EN: 0
; COMPUTE_PGM_RSRC2:TIDIG_COMP_CNT: 0
	.type	__hip_cuid_901a7dde592ea6d,@object ; @__hip_cuid_901a7dde592ea6d
	.section	.bss,"aw",@nobits
	.globl	__hip_cuid_901a7dde592ea6d
__hip_cuid_901a7dde592ea6d:
	.byte	0                               ; 0x0
	.size	__hip_cuid_901a7dde592ea6d, 1

	.ident	"AMD clang version 19.0.0git (https://github.com/RadeonOpenCompute/llvm-project roc-6.4.0 25133 c7fe45cf4b819c5991fe208aaa96edf142730f1d)"
	.section	".note.GNU-stack","",@progbits
	.addrsig
	.addrsig_sym __hip_cuid_901a7dde592ea6d
	.amdgpu_metadata
---
amdhsa.kernels:
  - .args:
      - .actual_access:  read_only
        .address_space:  global
        .offset:         0
        .size:           8
        .value_kind:     global_buffer
      - .actual_access:  read_only
        .address_space:  global
        .offset:         8
        .size:           8
        .value_kind:     global_buffer
      - .actual_access:  read_only
        .address_space:  global
        .offset:         16
        .size:           8
        .value_kind:     global_buffer
      - .actual_access:  read_only
        .address_space:  global
        .offset:         24
        .size:           8
        .value_kind:     global_buffer
      - .actual_access:  read_only
        .address_space:  global
        .offset:         32
        .size:           8
        .value_kind:     global_buffer
      - .offset:         40
        .size:           8
        .value_kind:     by_value
      - .address_space:  global
        .offset:         48
        .size:           8
        .value_kind:     global_buffer
      - .address_space:  global
        .offset:         56
        .size:           8
        .value_kind:     global_buffer
      - .address_space:  global
        .offset:         64
        .size:           8
        .value_kind:     global_buffer
      - .address_space:  global
        .offset:         72
        .size:           8
        .value_kind:     global_buffer
      - .offset:         80
        .size:           4
        .value_kind:     by_value
      - .address_space:  global
        .offset:         88
        .size:           8
        .value_kind:     global_buffer
      - .address_space:  global
        .offset:         96
        .size:           8
        .value_kind:     global_buffer
    .group_segment_fixed_size: 7000
    .kernarg_segment_align: 8
    .kernarg_segment_size: 104
    .language:       OpenCL C
    .language_version:
      - 2
      - 0
    .max_flat_workgroup_size: 175
    .name:           bluestein_single_back_len1750_dim1_half_op_CI_CI
    .private_segment_fixed_size: 0
    .sgpr_count:     24
    .sgpr_spill_count: 0
    .symbol:         bluestein_single_back_len1750_dim1_half_op_CI_CI.kd
    .uniform_work_group_size: 1
    .uses_dynamic_stack: false
    .vgpr_count:     111
    .vgpr_spill_count: 0
    .wavefront_size: 64
amdhsa.target:   amdgcn-amd-amdhsa--gfx906
amdhsa.version:
  - 1
  - 2
...

	.end_amdgpu_metadata
